;; amdgpu-corpus repo=ROCm/rocFFT kind=compiled arch=gfx1030 opt=O3
	.text
	.amdgcn_target "amdgcn-amd-amdhsa--gfx1030"
	.amdhsa_code_object_version 6
	.protected	bluestein_single_back_len306_dim1_dp_op_CI_CI ; -- Begin function bluestein_single_back_len306_dim1_dp_op_CI_CI
	.globl	bluestein_single_back_len306_dim1_dp_op_CI_CI
	.p2align	8
	.type	bluestein_single_back_len306_dim1_dp_op_CI_CI,@function
bluestein_single_back_len306_dim1_dp_op_CI_CI: ; @bluestein_single_back_len306_dim1_dp_op_CI_CI
; %bb.0:
	s_mov_b64 s[62:63], s[2:3]
	s_mov_b64 s[60:61], s[0:1]
	s_load_dwordx4 s[0:3], s[4:5], 0x28
	v_mul_u32_u24_e32 v1, 0x788, v0
	s_add_u32 s60, s60, s7
	s_addc_u32 s61, s61, 0
	v_lshrrev_b32_e32 v1, 16, v1
	v_mad_u64_u32 v[128:129], null, s6, 7, v[1:2]
	v_mov_b32_e32 v129, 0
                                        ; kill: def $vgpr2 killed $sgpr0 killed $exec
	s_waitcnt lgkmcnt(0)
	v_cmp_gt_u64_e32 vcc_lo, s[0:1], v[128:129]
	s_and_saveexec_b32 s0, vcc_lo
	s_cbranch_execz .LBB0_23
; %bb.1:
	v_mul_hi_u32 v2, 0x24924925, v128
	v_mul_lo_u16 v1, v1, 34
	s_clause 0x1
	s_load_dwordx2 s[12:13], s[4:5], 0x0
	s_load_dwordx2 s[14:15], s[4:5], 0x38
	v_sub_nc_u16 v0, v0, v1
	v_sub_nc_u32_e32 v3, v128, v2
	v_and_b32_e32 v255, 0xffff, v0
	v_cmp_gt_u16_e32 vcc_lo, 18, v0
	v_lshrrev_b32_e32 v3, 1, v3
	v_lshlrev_b32_e32 v235, 4, v255
	v_or_b32_e32 v241, 0x120, v255
	v_add_nc_u32_e32 v2, v3, v2
	v_lshrrev_b32_e32 v2, 2, v2
	v_mul_lo_u32 v2, v2, 7
	v_sub_nc_u32_e32 v1, v128, v2
	v_mul_u32_u24_e32 v236, 0x132, v1
	v_lshlrev_b32_e32 v242, 4, v236
	s_and_saveexec_b32 s1, vcc_lo
	s_cbranch_execz .LBB0_3
; %bb.2:
	s_load_dwordx2 s[6:7], s[4:5], 0x18
	s_waitcnt lgkmcnt(0)
	v_add_co_u32 v28, s0, s12, v235
	v_add_co_ci_u32_e64 v29, null, s13, 0, s0
	v_lshlrev_b32_e32 v32, 4, v241
	v_add_co_u32 v120, s0, 0x800, v28
	v_add_co_ci_u32_e64 v121, s0, 0, v29, s0
	v_add_co_u32 v129, s0, 0x1000, v28
	v_add_co_ci_u32_e64 v130, s0, 0, v29, s0
	s_load_dwordx4 s[8:11], s[6:7], 0x0
	s_clause 0xa
	global_load_dwordx4 v[0:3], v235, s[12:13] offset:288
	global_load_dwordx4 v[4:7], v235, s[12:13] offset:576
	;; [unrolled: 1-line block ×7, first 2 shown]
	global_load_dwordx4 v[28:31], v235, s[12:13]
	global_load_dwordx4 v[32:35], v32, s[12:13]
	global_load_dwordx4 v[36:39], v[120:121], off offset:256
	global_load_dwordx4 v[40:43], v[120:121], off offset:544
	s_waitcnt lgkmcnt(0)
	v_mad_u64_u32 v[60:61], null, s10, v128, 0
	v_mad_u64_u32 v[62:63], null, s8, v255, 0
	s_mul_i32 s6, s9, 0x120
	s_mul_hi_u32 s7, s8, 0x120
	s_add_i32 s7, s7, s6
	v_mov_b32_e32 v44, v61
	v_mov_b32_e32 v45, v63
	v_mad_u64_u32 v[63:64], null, s11, v128, v[44:45]
	v_mad_u64_u32 v[66:67], null, s9, v255, v[45:46]
	;; [unrolled: 1-line block ×3, first 2 shown]
	s_mulk_i32 s8, 0x120
	s_clause 0x3
	global_load_dwordx4 v[44:47], v[120:121], off offset:832
	global_load_dwordx4 v[48:51], v[120:121], off offset:1120
	;; [unrolled: 1-line block ×4, first 2 shown]
	v_mov_b32_e32 v61, v63
	v_mov_b32_e32 v63, v66
	v_mad_u64_u32 v[65:66], null, s9, v241, v[65:66]
	v_lshlrev_b64 v[60:61], 4, v[60:61]
	v_lshlrev_b64 v[62:63], 4, v[62:63]
	v_add_co_u32 v70, s0, s2, v60
	v_add_co_ci_u32_e64 v71, s0, s3, v61, s0
	v_lshlrev_b64 v[60:61], 4, v[64:65]
	v_add_co_u32 v66, s0, v70, v62
	v_add_co_ci_u32_e64 v67, s0, v71, v63, s0
	v_add_co_u32 v68, s0, v66, s8
	v_add_co_ci_u32_e64 v69, s0, s7, v67, s0
	;; [unrolled: 2-line block ×5, first 2 shown]
	global_load_dwordx4 v[60:63], v[60:61], off
	v_add_co_u32 v80, s0, v76, s8
	v_add_co_ci_u32_e64 v81, s0, s7, v77, s0
	s_clause 0x1
	global_load_dwordx4 v[64:67], v[66:67], off
	global_load_dwordx4 v[68:71], v[68:69], off
	v_add_co_u32 v84, s0, v80, s8
	v_add_co_ci_u32_e64 v85, s0, s7, v81, s0
	s_clause 0x1
	global_load_dwordx4 v[72:75], v[72:73], off
	global_load_dwordx4 v[76:79], v[76:77], off
	v_add_co_u32 v88, s0, v84, s8
	v_add_co_ci_u32_e64 v89, s0, s7, v85, s0
	global_load_dwordx4 v[80:83], v[80:81], off
	v_add_co_u32 v92, s0, v88, s8
	v_add_co_ci_u32_e64 v93, s0, s7, v89, s0
	;; [unrolled: 3-line block ×10, first 2 shown]
	global_load_dwordx4 v[116:119], v[116:117], off
	global_load_dwordx4 v[120:123], v[120:121], off offset:1984
	global_load_dwordx4 v[124:127], v[124:125], off
	global_load_dwordx4 v[129:132], v[129:130], off offset:224
	global_load_dwordx4 v[133:136], v[133:134], off
	s_waitcnt vmcnt(18)
	v_mul_f64 v[139:140], v[62:63], v[34:35]
	v_mul_f64 v[151:152], v[60:61], v[34:35]
	s_waitcnt vmcnt(17)
	v_mul_f64 v[137:138], v[66:67], v[30:31]
	v_mul_f64 v[30:31], v[64:65], v[30:31]
	;; [unrolled: 3-line block ×7, first 2 shown]
	v_fma_f64 v[2:3], v[60:61], v[32:33], v[139:140]
	v_fma_f64 v[64:65], v[64:65], v[28:29], v[137:138]
	v_fma_f64 v[66:67], v[66:67], v[28:29], -v[30:31]
	v_fma_f64 v[28:29], v[68:69], v[0:1], v[141:142]
	v_fma_f64 v[30:31], v[70:71], v[0:1], -v[143:144]
	s_waitcnt vmcnt(11)
	v_mul_f64 v[0:1], v[90:91], v[22:23]
	v_mul_f64 v[22:23], v[88:89], v[22:23]
	v_fma_f64 v[68:69], v[72:73], v[4:5], v[145:146]
	v_fma_f64 v[70:71], v[74:75], v[4:5], -v[6:7]
	s_waitcnt vmcnt(10)
	v_mul_f64 v[4:5], v[94:95], v[26:27]
	v_mul_f64 v[26:27], v[92:93], v[26:27]
	s_waitcnt vmcnt(9)
	v_mul_f64 v[60:61], v[98:99], v[38:39]
	v_mul_f64 v[38:39], v[96:97], v[38:39]
	v_fma_f64 v[6:7], v[76:77], v[8:9], v[147:148]
	v_fma_f64 v[8:9], v[78:79], v[8:9], -v[10:11]
	s_waitcnt vmcnt(8)
	v_mul_f64 v[72:73], v[102:103], v[42:43]
	v_mul_f64 v[42:43], v[100:101], v[42:43]
	v_fma_f64 v[10:11], v[80:81], v[12:13], v[149:150]
	v_fma_f64 v[12:13], v[82:83], v[12:13], -v[14:15]
	v_fma_f64 v[14:15], v[84:85], v[16:17], v[34:35]
	s_waitcnt vmcnt(7)
	v_mul_f64 v[74:75], v[106:107], v[46:47]
	v_mul_f64 v[46:47], v[104:105], v[46:47]
	v_fma_f64 v[16:17], v[86:87], v[16:17], -v[18:19]
	s_waitcnt vmcnt(6)
	v_mul_f64 v[76:77], v[110:111], v[50:51]
	v_mul_f64 v[50:51], v[108:109], v[50:51]
	v_fma_f64 v[18:19], v[88:89], v[20:21], v[0:1]
	v_fma_f64 v[20:21], v[90:91], v[20:21], -v[22:23]
	v_lshl_add_u32 v0, v255, 4, v242
	s_waitcnt vmcnt(5)
	v_mul_f64 v[78:79], v[114:115], v[54:55]
	v_mul_f64 v[54:55], v[112:113], v[54:55]
	s_waitcnt vmcnt(4)
	v_mul_f64 v[80:81], v[118:119], v[58:59]
	v_mul_f64 v[58:59], v[116:117], v[58:59]
	;; [unrolled: 3-line block ×4, first 2 shown]
	v_fma_f64 v[22:23], v[92:93], v[24:25], v[4:5]
	v_fma_f64 v[24:25], v[94:95], v[24:25], -v[26:27]
	v_fma_f64 v[34:35], v[96:97], v[36:37], v[60:61]
	v_fma_f64 v[36:37], v[98:99], v[36:37], -v[38:39]
	;; [unrolled: 2-line block ×4, first 2 shown]
	v_fma_f64 v[4:5], v[62:63], v[32:33], -v[151:152]
	v_fma_f64 v[46:47], v[108:109], v[48:49], v[76:77]
	v_fma_f64 v[48:49], v[110:111], v[48:49], -v[50:51]
	v_add_nc_u32_e32 v1, v242, v235
	v_fma_f64 v[50:51], v[112:113], v[52:53], v[78:79]
	v_fma_f64 v[52:53], v[114:115], v[52:53], -v[54:55]
	v_fma_f64 v[54:55], v[116:117], v[56:57], v[80:81]
	v_fma_f64 v[56:57], v[118:119], v[56:57], -v[58:59]
	;; [unrolled: 2-line block ×4, first 2 shown]
	ds_write_b128 v0, v[64:67]
	ds_write_b128 v1, v[28:31] offset:288
	ds_write_b128 v1, v[68:71] offset:576
	;; [unrolled: 1-line block ×16, first 2 shown]
.LBB0_3:
	s_or_b32 exec_lo, exec_lo, s1
	s_waitcnt lgkmcnt(0)
	s_barrier
	buffer_gl0_inv
                                        ; implicit-def: $vgpr36_vgpr37
                                        ; implicit-def: $vgpr52_vgpr53
                                        ; implicit-def: $vgpr56_vgpr57
                                        ; implicit-def: $vgpr60_vgpr61
                                        ; implicit-def: $vgpr68_vgpr69
                                        ; implicit-def: $vgpr72_vgpr73
                                        ; implicit-def: $vgpr179_vgpr180
                                        ; implicit-def: $vgpr191_vgpr192
                                        ; implicit-def: $vgpr84_vgpr85
                                        ; implicit-def: $vgpr88_vgpr89
                                        ; implicit-def: $vgpr92_vgpr93
                                        ; implicit-def: $vgpr64_vgpr65
                                        ; implicit-def: $vgpr48_vgpr49
                                        ; implicit-def: $vgpr44_vgpr45
                                        ; implicit-def: $vgpr40_vgpr41
                                        ; implicit-def: $vgpr32_vgpr33
                                        ; implicit-def: $vgpr28_vgpr29
	s_and_saveexec_b32 s0, vcc_lo
	s_cbranch_execz .LBB0_5
; %bb.4:
	v_lshl_add_u32 v0, v236, 4, v235
	ds_read_b128 v[36:39], v0
	ds_read_b128 v[52:55], v0 offset:288
	ds_read_b128 v[56:59], v0 offset:576
	;; [unrolled: 1-line block ×16, first 2 shown]
.LBB0_5:
	s_or_b32 exec_lo, exec_lo, s0
	s_waitcnt lgkmcnt(0)
	v_add_f64 v[2:3], v[54:55], -v[30:31]
	s_mov_b32 s40, 0x5d8e7cdc
	s_mov_b32 s41, 0xbfd71e95
	v_add_f64 v[108:109], v[52:53], v[28:29]
	v_add_f64 v[0:1], v[52:53], -v[28:29]
	v_add_f64 v[114:115], v[58:59], -v[34:35]
	s_mov_b32 s0, 0x370991
	s_mov_b32 s46, 0x2a9d6da3
	;; [unrolled: 1-line block ×4, first 2 shown]
	v_add_f64 v[110:111], v[54:55], v[30:31]
	v_add_f64 v[104:105], v[56:57], v[32:33]
	v_add_f64 v[112:113], v[56:57], -v[32:33]
	s_clause 0x1
	s_load_dwordx2 s[6:7], s[4:5], 0x20
	s_load_dwordx2 s[2:3], s[4:5], 0x8
	s_mov_b32 s4, 0x75d4884
	s_mov_b32 s5, 0x3fe7a5f6
	v_add_f64 v[106:107], v[58:59], v[34:35]
	s_mov_b32 s42, 0xeb564b22
	s_mov_b32 s43, 0xbfefdd0d
	;; [unrolled: 1-line block ×5, first 2 shown]
	v_mul_f64 v[137:138], v[2:3], s[40:41]
	v_mul_f64 v[145:146], v[2:3], s[46:47]
	s_mov_b32 s26, 0x6c9a05f6
	s_mov_b32 s25, 0xbfeec746
	v_mul_f64 v[141:142], v[0:1], s[40:41]
	v_mul_f64 v[245:246], v[114:115], s[46:47]
	;; [unrolled: 1-line block ×4, first 2 shown]
	s_mov_b32 s27, 0xbfe9895b
	v_mul_f64 v[18:19], v[0:1], s[42:43]
	v_mul_f64 v[20:21], v[2:3], s[24:25]
	;; [unrolled: 1-line block ×6, first 2 shown]
	s_mov_b32 s36, 0x7c9e640b
	s_mov_b32 s37, 0xbfeca52d
	;; [unrolled: 1-line block ×3, first 2 shown]
	v_mul_f64 v[155:156], v[2:3], s[36:37]
	s_mov_b32 s9, 0x3fdc86fa
	v_mul_f64 v[167:168], v[0:1], s[36:37]
	s_mov_b32 s18, 0x6ed5f1bb
	v_fma_f64 v[4:5], v[108:109], s[0:1], v[137:138]
	v_fma_f64 v[8:9], v[108:109], s[4:5], v[145:146]
	buffer_store_dword v18, off, s[60:63], 0 offset:456 ; 4-byte Folded Spill
	buffer_store_dword v19, off, s[60:63], 0 offset:460 ; 4-byte Folded Spill
	v_fma_f64 v[6:7], v[110:111], s[0:1], -v[141:142]
	v_fma_f64 v[116:117], v[104:105], s[4:5], v[245:246]
	v_fma_f64 v[10:11], v[110:111], s[4:5], -v[149:150]
	buffer_store_dword v20, off, s[60:63], 0 offset:464 ; 4-byte Folded Spill
	buffer_store_dword v21, off, s[60:63], 0 offset:468 ; 4-byte Folded Spill
	;; [unrolled: 1-line block ×4, first 2 shown]
	s_mov_b32 s19, 0xbfe348c8
	s_mov_b32 s34, 0xacd6c6b4
	;; [unrolled: 1-line block ×3, first 2 shown]
	v_fma_f64 v[12:13], v[108:109], s[8:9], v[155:156]
	v_mul_f64 v[76:77], v[2:3], s[42:43]
	v_fma_f64 v[14:15], v[110:111], s[8:9], -v[167:168]
	s_mov_b32 s16, 0x7faef3
	v_add_f64 v[4:5], v[36:37], v[4:5]
	v_add_f64 v[8:9], v[36:37], v[8:9]
	s_mov_b32 s17, 0xbfef7484
	s_mov_b32 s30, 0x4363dd80
	;; [unrolled: 1-line block ×7, first 2 shown]
	v_mul_f64 v[183:184], v[0:1], s[24:25]
	v_add_f64 v[6:7], v[38:39], v[6:7]
	s_mov_b32 s10, 0x910ea3b9
	v_add_f64 v[10:11], v[38:39], v[10:11]
	s_mov_b32 s11, 0xbfeb34fa
	s_mov_b32 s49, 0x3feec746
	s_mov_b32 s48, s24
	v_mul_f64 v[187:188], v[2:3], s[26:27]
	s_mov_b32 s29, 0x3feca52d
	v_add_f64 v[12:13], v[36:37], v[12:13]
	v_fma_f64 v[16:17], v[108:109], s[20:21], v[76:77]
	v_add_f64 v[14:15], v[38:39], v[14:15]
	s_mov_b32 s28, s36
	v_add_f64 v[4:5], v[116:117], v[4:5]
	v_fma_f64 v[116:117], v[106:107], s[4:5], -v[247:248]
	v_mul_f64 v[82:83], v[2:3], s[30:31]
	v_mul_f64 v[203:204], v[0:1], s[30:31]
	;; [unrolled: 1-line block ×3, first 2 shown]
	s_mov_b32 s45, 0x3fd71e95
	s_mov_b32 s44, s40
	v_mul_f64 v[0:1], v[0:1], s[34:35]
	v_add_f64 v[157:158], v[60:61], v[40:41]
	v_fma_f64 v[22:23], v[110:111], s[22:23], -v[183:184]
	v_add_f64 v[159:160], v[62:63], v[42:43]
	s_mov_b32 s39, 0x3fc7851a
	s_mov_b32 s38, s34
	v_add_f64 v[185:186], v[68:69], v[44:45]
	v_add_f64 v[189:190], v[70:71], v[46:47]
	s_mov_b32 s53, 0x3fe9895b
	v_fma_f64 v[24:25], v[108:109], s[18:19], v[187:188]
	s_mov_b32 s52, s26
	v_add_f64 v[129:130], v[74:75], -v[50:51]
	v_add_f64 v[16:17], v[36:37], v[16:17]
	v_add_f64 v[124:125], v[72:73], -v[48:49]
	v_add_f64 v[215:216], v[72:73], v[48:49]
	v_add_f64 v[219:220], v[74:75], v[50:51]
	v_add_f64 v[6:7], v[116:117], v[6:7]
	v_fma_f64 v[116:117], v[104:105], s[20:21], v[249:250]
	v_fma_f64 v[96:97], v[108:109], s[10:11], v[82:83]
	v_fma_f64 v[98:99], v[110:111], s[10:11], -v[203:204]
	v_fma_f64 v[100:101], v[108:109], s[16:17], -v[2:3]
	v_fma_f64 v[2:3], v[108:109], s[16:17], v[2:3]
	v_fma_f64 v[102:103], v[110:111], s[16:17], v[0:1]
	v_fma_f64 v[0:1], v[110:111], s[16:17], -v[0:1]
	v_add_f64 v[22:23], v[38:39], v[22:23]
	v_add_f64 v[133:134], v[181:182], -v[66:67]
	v_add_f64 v[80:81], v[179:180], v[64:65]
	v_add_f64 v[243:244], v[181:182], v[66:67]
	v_add_f64 v[173:174], v[191:192], -v[92:93]
	v_add_f64 v[177:178], v[193:194], -v[94:95]
	v_add_f64 v[237:238], v[193:194], v[94:95]
	v_add_f64 v[24:25], v[36:37], v[24:25]
	v_add_f64 v[233:234], v[86:87], -v[90:91]
	v_mul_f64 v[253:254], v[129:130], s[36:37]
	v_add_f64 v[231:232], v[84:85], -v[88:89]
	v_mul_f64 v[126:127], v[124:125], s[40:41]
	v_add_f64 v[8:9], v[116:117], v[8:9]
	v_fma_f64 v[116:117], v[106:107], s[20:21], -v[251:252]
	v_add_f64 v[96:97], v[36:37], v[96:97]
	v_add_f64 v[98:99], v[38:39], v[98:99]
	;; [unrolled: 1-line block ×6, first 2 shown]
	v_mul_f64 v[163:164], v[133:134], s[34:35]
	v_mul_f64 v[195:196], v[173:174], s[28:29]
	;; [unrolled: 1-line block ×8, first 2 shown]
	v_add_f64 v[10:11], v[116:117], v[10:11]
	v_mul_f64 v[116:117], v[114:115], s[26:27]
	buffer_store_dword v116, off, s[60:63], 0 offset:80 ; 4-byte Folded Spill
	buffer_store_dword v117, off, s[60:63], 0 offset:84 ; 4-byte Folded Spill
	;; [unrolled: 1-line block ×4, first 2 shown]
	v_fma_f64 v[18:19], v[110:111], s[20:21], -v[18:19]
	v_fma_f64 v[20:21], v[108:109], s[22:23], v[20:21]
	v_fma_f64 v[26:27], v[110:111], s[18:19], -v[26:27]
	v_add_f64 v[18:19], v[38:39], v[18:19]
	v_add_f64 v[20:21], v[36:37], v[20:21]
	;; [unrolled: 1-line block ×3, first 2 shown]
	v_fma_f64 v[116:117], v[104:105], s[18:19], v[116:117]
	v_add_f64 v[12:13], v[116:117], v[12:13]
	v_fma_f64 v[116:117], v[106:107], s[18:19], -v[118:119]
	v_mul_f64 v[118:119], v[112:113], s[34:35]
	v_add_f64 v[14:15], v[116:117], v[14:15]
	v_mul_f64 v[116:117], v[114:115], s[34:35]
	buffer_store_dword v116, off, s[60:63], 0 offset:96 ; 4-byte Folded Spill
	buffer_store_dword v117, off, s[60:63], 0 offset:100 ; 4-byte Folded Spill
	buffer_store_dword v118, off, s[60:63], 0 offset:104 ; 4-byte Folded Spill
	buffer_store_dword v119, off, s[60:63], 0 offset:108 ; 4-byte Folded Spill
	v_fma_f64 v[116:117], v[104:105], s[16:17], v[116:117]
	v_add_f64 v[16:17], v[116:117], v[16:17]
	v_fma_f64 v[116:117], v[106:107], s[16:17], -v[118:119]
	v_mul_f64 v[118:119], v[112:113], s[50:51]
	v_add_f64 v[18:19], v[116:117], v[18:19]
	v_mul_f64 v[116:117], v[114:115], s[50:51]
	buffer_store_dword v116, off, s[60:63], 0 offset:112 ; 4-byte Folded Spill
	buffer_store_dword v117, off, s[60:63], 0 offset:116 ; 4-byte Folded Spill
	buffer_store_dword v118, off, s[60:63], 0 offset:120 ; 4-byte Folded Spill
	buffer_store_dword v119, off, s[60:63], 0 offset:124 ; 4-byte Folded Spill
	;; [unrolled: 10-line block ×3, first 2 shown]
	v_fma_f64 v[116:117], v[104:105], s[22:23], v[116:117]
	v_add_f64 v[24:25], v[116:117], v[24:25]
	v_fma_f64 v[116:117], v[106:107], s[22:23], -v[118:119]
	v_mul_f64 v[118:119], v[112:113], s[28:29]
	v_mul_f64 v[112:113], v[112:113], s[44:45]
	v_add_f64 v[26:27], v[116:117], v[26:27]
	v_mul_f64 v[116:117], v[114:115], s[28:29]
	v_mul_f64 v[114:115], v[114:115], s[44:45]
	buffer_store_dword v116, off, s[60:63], 0 offset:144 ; 4-byte Folded Spill
	buffer_store_dword v117, off, s[60:63], 0 offset:148 ; 4-byte Folded Spill
	;; [unrolled: 1-line block ×4, first 2 shown]
	v_fma_f64 v[116:117], v[104:105], s[8:9], v[116:117]
	v_add_f64 v[96:97], v[116:117], v[96:97]
	v_fma_f64 v[116:117], v[106:107], s[8:9], -v[118:119]
	v_add_f64 v[98:99], v[116:117], v[98:99]
	v_fma_f64 v[116:117], v[104:105], s[0:1], -v[114:115]
	v_fma_f64 v[114:115], v[104:105], s[0:1], v[114:115]
	v_add_f64 v[100:101], v[116:117], v[100:101]
	v_fma_f64 v[116:117], v[106:107], s[0:1], v[112:113]
	v_add_f64 v[2:3], v[114:115], v[2:3]
	v_fma_f64 v[112:113], v[106:107], s[0:1], -v[112:113]
	v_add_f64 v[114:115], v[62:63], -v[42:43]
	v_add_f64 v[102:103], v[116:117], v[102:103]
	v_add_f64 v[0:1], v[112:113], v[0:1]
	v_add_f64 v[112:113], v[60:61], -v[40:41]
	v_mul_f64 v[116:117], v[114:115], s[36:37]
	buffer_store_dword v116, off, s[60:63], 0 offset:160 ; 4-byte Folded Spill
	buffer_store_dword v117, off, s[60:63], 0 offset:164 ; 4-byte Folded Spill
	v_mul_f64 v[118:119], v[112:113], s[36:37]
	buffer_store_dword v118, off, s[60:63], 0 offset:168 ; 4-byte Folded Spill
	buffer_store_dword v119, off, s[60:63], 0 offset:172 ; 4-byte Folded Spill
	v_fma_f64 v[116:117], v[157:158], s[8:9], v[116:117]
	v_add_f64 v[4:5], v[116:117], v[4:5]
	v_fma_f64 v[116:117], v[159:160], s[8:9], -v[118:119]
	v_mul_f64 v[118:119], v[112:113], s[26:27]
	v_add_f64 v[6:7], v[116:117], v[6:7]
	v_mul_f64 v[116:117], v[114:115], s[26:27]
	buffer_store_dword v116, off, s[60:63], 0 offset:176 ; 4-byte Folded Spill
	buffer_store_dword v117, off, s[60:63], 0 offset:180 ; 4-byte Folded Spill
	;; [unrolled: 1-line block ×4, first 2 shown]
	v_fma_f64 v[116:117], v[157:158], s[18:19], v[116:117]
	v_add_f64 v[8:9], v[116:117], v[8:9]
	v_fma_f64 v[116:117], v[159:160], s[18:19], -v[118:119]
	v_mul_f64 v[118:119], v[112:113], s[38:39]
	v_add_f64 v[10:11], v[116:117], v[10:11]
	v_mul_f64 v[116:117], v[114:115], s[38:39]
	buffer_store_dword v116, off, s[60:63], 0 offset:184 ; 4-byte Folded Spill
	buffer_store_dword v117, off, s[60:63], 0 offset:188 ; 4-byte Folded Spill
	;; [unrolled: 1-line block ×4, first 2 shown]
	s_mov_b32 s39, 0x3fe58eea
	s_mov_b32 s38, s46
	v_mul_f64 v[199:200], v[177:178], s[38:39]
	v_mul_f64 v[201:202], v[173:174], s[38:39]
	v_fma_f64 v[116:117], v[157:158], s[16:17], v[116:117]
	v_add_f64 v[12:13], v[116:117], v[12:13]
	v_fma_f64 v[116:117], v[159:160], s[16:17], -v[118:119]
	v_mul_f64 v[118:119], v[112:113], s[48:49]
	v_add_f64 v[14:15], v[116:117], v[14:15]
	v_mul_f64 v[116:117], v[114:115], s[48:49]
	buffer_store_dword v116, off, s[60:63], 0 offset:208 ; 4-byte Folded Spill
	buffer_store_dword v117, off, s[60:63], 0 offset:212 ; 4-byte Folded Spill
	buffer_store_dword v118, off, s[60:63], 0 offset:216 ; 4-byte Folded Spill
	buffer_store_dword v119, off, s[60:63], 0 offset:220 ; 4-byte Folded Spill
	v_fma_f64 v[116:117], v[157:158], s[22:23], v[116:117]
	v_add_f64 v[16:17], v[116:117], v[16:17]
	v_fma_f64 v[116:117], v[159:160], s[22:23], -v[118:119]
	v_mul_f64 v[118:119], v[112:113], s[38:39]
	v_add_f64 v[18:19], v[116:117], v[18:19]
	v_mul_f64 v[116:117], v[114:115], s[38:39]
	buffer_store_dword v116, off, s[60:63], 0 offset:224 ; 4-byte Folded Spill
	buffer_store_dword v117, off, s[60:63], 0 offset:228 ; 4-byte Folded Spill
	buffer_store_dword v118, off, s[60:63], 0 offset:232 ; 4-byte Folded Spill
	buffer_store_dword v119, off, s[60:63], 0 offset:236 ; 4-byte Folded Spill
	;; [unrolled: 10-line block ×3, first 2 shown]
	v_fma_f64 v[116:117], v[157:158], s[0:1], v[116:117]
	v_add_f64 v[24:25], v[116:117], v[24:25]
	v_fma_f64 v[116:117], v[159:160], s[0:1], -v[118:119]
	v_mul_f64 v[118:119], v[112:113], s[42:43]
	v_mul_f64 v[112:113], v[112:113], s[30:31]
	v_add_f64 v[26:27], v[116:117], v[26:27]
	v_mul_f64 v[116:117], v[114:115], s[42:43]
	buffer_store_dword v116, off, s[60:63], 0 offset:256 ; 4-byte Folded Spill
	buffer_store_dword v117, off, s[60:63], 0 offset:260 ; 4-byte Folded Spill
	buffer_store_dword v118, off, s[60:63], 0 offset:264 ; 4-byte Folded Spill
	buffer_store_dword v119, off, s[60:63], 0 offset:268 ; 4-byte Folded Spill
	v_mul_f64 v[114:115], v[114:115], s[30:31]
	v_fma_f64 v[116:117], v[157:158], s[20:21], v[116:117]
	v_add_f64 v[96:97], v[116:117], v[96:97]
	v_fma_f64 v[116:117], v[159:160], s[20:21], -v[118:119]
	v_add_f64 v[98:99], v[116:117], v[98:99]
	v_fma_f64 v[116:117], v[157:158], s[10:11], -v[114:115]
	v_fma_f64 v[114:115], v[157:158], s[10:11], v[114:115]
	v_add_f64 v[100:101], v[116:117], v[100:101]
	v_fma_f64 v[116:117], v[159:160], s[10:11], v[112:113]
	v_add_f64 v[2:3], v[114:115], v[2:3]
	v_fma_f64 v[112:113], v[159:160], s[10:11], -v[112:113]
	v_add_f64 v[114:115], v[70:71], -v[46:47]
	v_add_f64 v[102:103], v[116:117], v[102:103]
	v_add_f64 v[0:1], v[112:113], v[0:1]
	v_add_f64 v[112:113], v[68:69], -v[44:45]
	v_mul_f64 v[116:117], v[114:115], s[42:43]
	buffer_store_dword v116, off, s[60:63], 0 offset:272 ; 4-byte Folded Spill
	buffer_store_dword v117, off, s[60:63], 0 offset:276 ; 4-byte Folded Spill
	v_mul_f64 v[118:119], v[112:113], s[42:43]
	buffer_store_dword v118, off, s[60:63], 0 offset:280 ; 4-byte Folded Spill
	buffer_store_dword v119, off, s[60:63], 0 offset:284 ; 4-byte Folded Spill
	v_fma_f64 v[116:117], v[185:186], s[20:21], v[116:117]
	v_add_f64 v[4:5], v[116:117], v[4:5]
	v_fma_f64 v[116:117], v[189:190], s[20:21], -v[118:119]
	v_mul_f64 v[118:119], v[112:113], s[34:35]
	v_add_f64 v[6:7], v[116:117], v[6:7]
	v_mul_f64 v[116:117], v[114:115], s[34:35]
	buffer_store_dword v116, off, s[60:63], 0 offset:288 ; 4-byte Folded Spill
	buffer_store_dword v117, off, s[60:63], 0 offset:292 ; 4-byte Folded Spill
	buffer_store_dword v118, off, s[60:63], 0 offset:296 ; 4-byte Folded Spill
	buffer_store_dword v119, off, s[60:63], 0 offset:300 ; 4-byte Folded Spill
	v_fma_f64 v[116:117], v[185:186], s[16:17], v[116:117]
	v_add_f64 v[8:9], v[116:117], v[8:9]
	v_fma_f64 v[116:117], v[189:190], s[16:17], -v[118:119]
	v_mul_f64 v[118:119], v[112:113], s[48:49]
	v_add_f64 v[10:11], v[116:117], v[10:11]
	v_mul_f64 v[116:117], v[114:115], s[48:49]
	buffer_store_dword v116, off, s[60:63], 0 offset:304 ; 4-byte Folded Spill
	buffer_store_dword v117, off, s[60:63], 0 offset:308 ; 4-byte Folded Spill
	;; [unrolled: 10-line block ×5, first 2 shown]
	buffer_store_dword v118, off, s[60:63], 0 offset:360 ; 4-byte Folded Spill
	buffer_store_dword v119, off, s[60:63], 0 offset:364 ; 4-byte Folded Spill
	v_fma_f64 v[116:117], v[185:186], s[10:11], v[116:117]
	v_add_f64 v[24:25], v[116:117], v[24:25]
	v_fma_f64 v[116:117], v[189:190], s[10:11], -v[118:119]
	v_mul_f64 v[118:119], v[112:113], s[52:53]
	v_mul_f64 v[112:113], v[112:113], s[38:39]
	v_add_f64 v[26:27], v[116:117], v[26:27]
	v_mul_f64 v[116:117], v[114:115], s[52:53]
	buffer_store_dword v116, off, s[60:63], 0 offset:368 ; 4-byte Folded Spill
	buffer_store_dword v117, off, s[60:63], 0 offset:372 ; 4-byte Folded Spill
	;; [unrolled: 1-line block ×4, first 2 shown]
	v_mul_f64 v[114:115], v[114:115], s[38:39]
	v_fma_f64 v[116:117], v[185:186], s[18:19], v[116:117]
	v_add_f64 v[96:97], v[116:117], v[96:97]
	v_fma_f64 v[116:117], v[189:190], s[18:19], -v[118:119]
	v_add_f64 v[98:99], v[116:117], v[98:99]
	v_fma_f64 v[116:117], v[185:186], s[4:5], -v[114:115]
	v_fma_f64 v[114:115], v[185:186], s[4:5], v[114:115]
	v_add_f64 v[100:101], v[116:117], v[100:101]
	v_fma_f64 v[116:117], v[189:190], s[4:5], v[112:113]
	v_fma_f64 v[112:113], v[189:190], s[4:5], -v[112:113]
	v_add_f64 v[2:3], v[114:115], v[2:3]
	v_mul_f64 v[114:115], v[124:125], s[24:25]
	v_add_f64 v[102:103], v[116:117], v[102:103]
	v_add_f64 v[0:1], v[112:113], v[0:1]
	v_mul_f64 v[112:113], v[129:130], s[24:25]
	buffer_store_dword v112, off, s[60:63], 0 offset:384 ; 4-byte Folded Spill
	buffer_store_dword v113, off, s[60:63], 0 offset:388 ; 4-byte Folded Spill
	;; [unrolled: 1-line block ×4, first 2 shown]
	v_mul_f64 v[116:117], v[124:125], s[34:35]
	v_fma_f64 v[112:113], v[215:216], s[22:23], v[112:113]
	v_add_f64 v[4:5], v[112:113], v[4:5]
	v_fma_f64 v[112:113], v[219:220], s[22:23], -v[114:115]
	v_mul_f64 v[114:115], v[124:125], s[50:51]
	v_add_f64 v[6:7], v[112:113], v[6:7]
	v_mul_f64 v[112:113], v[129:130], s[50:51]
	buffer_store_dword v112, off, s[60:63], 0 offset:400 ; 4-byte Folded Spill
	buffer_store_dword v113, off, s[60:63], 0 offset:404 ; 4-byte Folded Spill
	;; [unrolled: 1-line block ×4, first 2 shown]
	v_fma_f64 v[112:113], v[215:216], s[10:11], v[112:113]
	v_add_f64 v[8:9], v[112:113], v[8:9]
	v_fma_f64 v[112:113], v[219:220], s[10:11], -v[114:115]
	v_mul_f64 v[114:115], v[124:125], s[38:39]
	v_add_f64 v[10:11], v[112:113], v[10:11]
	v_mul_f64 v[112:113], v[129:130], s[38:39]
	buffer_store_dword v112, off, s[60:63], 0 offset:416 ; 4-byte Folded Spill
	buffer_store_dword v113, off, s[60:63], 0 offset:420 ; 4-byte Folded Spill
	;; [unrolled: 1-line block ×4, first 2 shown]
	v_fma_f64 v[112:113], v[215:216], s[4:5], v[112:113]
	v_add_f64 v[12:13], v[112:113], v[12:13]
	v_fma_f64 v[112:113], v[219:220], s[4:5], -v[114:115]
	v_fma_f64 v[114:115], v[215:216], s[8:9], v[253:254]
	v_add_f64 v[14:15], v[112:113], v[14:15]
	v_mul_f64 v[112:113], v[124:125], s[36:37]
	v_add_f64 v[16:17], v[114:115], v[16:17]
	s_mov_b32 s37, 0x3fefdd0d
	s_mov_b32 s36, s42
	v_mul_f64 v[120:121], v[124:125], s[36:37]
	v_mul_f64 v[124:125], v[124:125], s[26:27]
	v_fma_f64 v[114:115], v[219:220], s[8:9], -v[112:113]
	v_add_f64 v[18:19], v[114:115], v[18:19]
	v_mul_f64 v[114:115], v[129:130], s[34:35]
	v_fma_f64 v[118:119], v[215:216], s[16:17], v[114:115]
	v_add_f64 v[20:21], v[118:119], v[20:21]
	v_fma_f64 v[118:119], v[219:220], s[16:17], -v[116:117]
	v_add_f64 v[22:23], v[118:119], v[22:23]
	v_mul_f64 v[118:119], v[129:130], s[36:37]
	v_fma_f64 v[122:123], v[215:216], s[20:21], v[118:119]
	v_add_f64 v[24:25], v[122:123], v[24:25]
	v_fma_f64 v[122:123], v[219:220], s[20:21], -v[120:121]
	v_add_f64 v[26:27], v[122:123], v[26:27]
	v_mul_f64 v[122:123], v[129:130], s[40:41]
	v_mul_f64 v[129:130], v[129:130], s[26:27]
	v_fma_f64 v[131:132], v[215:216], s[0:1], v[122:123]
	v_add_f64 v[96:97], v[131:132], v[96:97]
	v_fma_f64 v[131:132], v[219:220], s[0:1], -v[126:127]
	v_add_f64 v[98:99], v[131:132], v[98:99]
	v_fma_f64 v[131:132], v[215:216], s[18:19], -v[129:130]
	v_fma_f64 v[129:130], v[215:216], s[18:19], v[129:130]
	v_add_f64 v[100:101], v[131:132], v[100:101]
	v_fma_f64 v[131:132], v[219:220], s[18:19], v[124:125]
	v_fma_f64 v[124:125], v[219:220], s[18:19], -v[124:125]
	v_add_f64 v[2:3], v[129:130], v[2:3]
	v_add_f64 v[102:103], v[131:132], v[102:103]
	v_add_f64 v[131:132], v[179:180], -v[64:65]
	v_add_f64 v[0:1], v[124:125], v[0:1]
	v_mul_f64 v[124:125], v[133:134], s[26:27]
	v_mul_f64 v[151:152], v[131:132], s[30:31]
	buffer_store_dword v151, off, s[60:63], 0 offset:432 ; 4-byte Folded Spill
	buffer_store_dword v152, off, s[60:63], 0 offset:436 ; 4-byte Folded Spill
	v_mul_f64 v[153:154], v[131:132], s[36:37]
	buffer_store_dword v153, off, s[60:63], 0 offset:440 ; 4-byte Folded Spill
	buffer_store_dword v154, off, s[60:63], 0 offset:444 ; 4-byte Folded Spill
	v_mul_f64 v[129:130], v[131:132], s[26:27]
	v_fma_f64 v[135:136], v[80:81], s[18:19], v[124:125]
	v_mul_f64 v[205:206], v[131:132], s[48:49]
	v_mul_f64 v[213:214], v[131:132], s[40:41]
	buffer_store_dword v195, off, s[60:63], 0 offset:448 ; 4-byte Folded Spill
	buffer_store_dword v196, off, s[60:63], 0 offset:452 ; 4-byte Folded Spill
	v_mul_f64 v[161:162], v[131:132], s[46:47]
	v_mul_f64 v[169:170], v[131:132], s[34:35]
	;; [unrolled: 1-line block ×3, first 2 shown]
	v_add_f64 v[4:5], v[135:136], v[4:5]
	v_fma_f64 v[135:136], v[243:244], s[18:19], -v[129:130]
	v_add_f64 v[6:7], v[135:136], v[6:7]
	v_mul_f64 v[135:136], v[133:134], s[48:49]
	v_fma_f64 v[139:140], v[80:81], s[22:23], v[135:136]
	v_add_f64 v[8:9], v[139:140], v[8:9]
	v_fma_f64 v[139:140], v[243:244], s[22:23], -v[205:206]
	v_add_f64 v[10:11], v[139:140], v[10:11]
	v_mul_f64 v[139:140], v[133:134], s[40:41]
	v_fma_f64 v[143:144], v[80:81], s[0:1], v[139:140]
	;; [unrolled: 5-line block ×4, first 2 shown]
	v_add_f64 v[20:21], v[151:152], v[20:21]
	v_fma_f64 v[151:152], v[243:244], s[20:21], -v[153:154]
	v_add_f64 v[22:23], v[151:152], v[22:23]
	v_mul_f64 v[151:152], v[133:134], s[46:47]
	v_mul_f64 v[133:134], v[133:134], s[28:29]
	v_fma_f64 v[153:154], v[80:81], s[4:5], v[151:152]
	v_add_f64 v[24:25], v[153:154], v[24:25]
	v_fma_f64 v[153:154], v[243:244], s[4:5], -v[161:162]
	v_add_f64 v[26:27], v[153:154], v[26:27]
	v_fma_f64 v[153:154], v[80:81], s[16:17], v[163:164]
	v_add_f64 v[96:97], v[153:154], v[96:97]
	v_fma_f64 v[153:154], v[243:244], s[16:17], -v[169:170]
	v_add_f64 v[98:99], v[153:154], v[98:99]
	v_fma_f64 v[153:154], v[80:81], s[8:9], -v[133:134]
	v_fma_f64 v[133:134], v[80:81], s[8:9], v[133:134]
	v_add_f64 v[100:101], v[153:154], v[100:101]
	v_fma_f64 v[153:154], v[243:244], s[8:9], v[131:132]
	v_fma_f64 v[131:132], v[243:244], s[8:9], -v[131:132]
	v_add_f64 v[2:3], v[133:134], v[2:3]
	v_mul_f64 v[133:134], v[177:178], s[52:53]
	v_add_f64 v[102:103], v[153:154], v[102:103]
	v_add_f64 v[0:1], v[131:132], v[0:1]
	;; [unrolled: 1-line block ×3, first 2 shown]
	v_mul_f64 v[153:154], v[177:178], s[30:31]
	v_fma_f64 v[165:166], v[131:132], s[10:11], v[153:154]
	v_add_f64 v[4:5], v[165:166], v[4:5]
	v_fma_f64 v[165:166], v[237:238], s[10:11], -v[221:222]
	v_add_f64 v[6:7], v[165:166], v[6:7]
	v_mul_f64 v[165:166], v[177:178], s[28:29]
	v_fma_f64 v[171:172], v[131:132], s[8:9], v[165:166]
	v_add_f64 v[207:208], v[171:172], v[8:9]
	v_fma_f64 v[8:9], v[237:238], s[8:9], -v[195:196]
	v_mul_f64 v[171:172], v[177:178], s[42:43]
	v_mul_f64 v[195:196], v[177:178], s[34:35]
	v_add_f64 v[209:210], v[8:9], v[10:11]
	v_fma_f64 v[10:11], v[237:238], s[20:21], -v[175:176]
	v_fma_f64 v[8:9], v[131:132], s[20:21], v[171:172]
	v_add_f64 v[10:11], v[10:11], v[14:15]
	v_mul_f64 v[14:15], v[173:174], s[52:53]
	buffer_store_dword v14, off, s[60:63], 0 offset:472 ; 4-byte Folded Spill
	buffer_store_dword v15, off, s[60:63], 0 offset:476 ; 4-byte Folded Spill
	v_add_f64 v[8:9], v[8:9], v[12:13]
	v_fma_f64 v[12:13], v[131:132], s[18:19], v[133:134]
	v_add_f64 v[12:13], v[12:13], v[16:17]
	v_mul_f64 v[16:17], v[177:178], s[40:41]
	buffer_store_dword v16, off, s[60:63], 0 offset:480 ; 4-byte Folded Spill
	buffer_store_dword v17, off, s[60:63], 0 offset:484 ; 4-byte Folded Spill
	v_mul_f64 v[177:178], v[177:178], s[24:25]
	v_fma_f64 v[14:15], v[237:238], s[18:19], -v[14:15]
	v_add_f64 v[14:15], v[14:15], v[18:19]
	v_mul_f64 v[18:19], v[173:174], s[40:41]
	buffer_store_dword v18, off, s[60:63], 0 offset:488 ; 4-byte Folded Spill
	buffer_store_dword v19, off, s[60:63], 0 offset:492 ; 4-byte Folded Spill
	v_mul_f64 v[173:174], v[173:174], s[24:25]
	v_fma_f64 v[16:17], v[131:132], s[0:1], v[16:17]
	v_add_f64 v[16:17], v[16:17], v[20:21]
	v_fma_f64 v[20:21], v[131:132], s[16:17], v[195:196]
	v_add_f64 v[20:21], v[20:21], v[24:25]
	;; [unrolled: 2-line block ×3, first 2 shown]
	v_fma_f64 v[96:97], v[131:132], s[22:23], -v[177:178]
	v_add_f64 v[96:97], v[96:97], v[100:101]
	v_fma_f64 v[100:101], v[131:132], s[22:23], v[177:178]
	v_add_f64 v[177:178], v[86:87], v[90:91]
	v_add_f64 v[100:101], v[100:101], v[2:3]
	v_fma_f64 v[2:3], v[237:238], s[22:23], -v[173:174]
	v_fma_f64 v[18:19], v[237:238], s[0:1], -v[18:19]
	v_add_f64 v[18:19], v[18:19], v[22:23]
	v_fma_f64 v[22:23], v[237:238], s[16:17], -v[197:198]
	v_add_f64 v[22:23], v[22:23], v[26:27]
	;; [unrolled: 2-line block ×3, first 2 shown]
	v_fma_f64 v[98:99], v[237:238], s[22:23], v[173:174]
	v_add_f64 v[173:174], v[84:85], v[88:89]
	v_add_f64 v[98:99], v[98:99], v[102:103]
	;; [unrolled: 1-line block ×3, first 2 shown]
	v_mul_f64 v[0:1], v[233:234], s[34:35]
	buffer_store_dword v0, off, s[60:63], 0 offset:496 ; 4-byte Folded Spill
	buffer_store_dword v1, off, s[60:63], 0 offset:500 ; 4-byte Folded Spill
	v_mul_f64 v[2:3], v[231:232], s[34:35]
	buffer_store_dword v2, off, s[60:63], 0 offset:504 ; 4-byte Folded Spill
	buffer_store_dword v3, off, s[60:63], 0 offset:508 ; 4-byte Folded Spill
	v_fma_f64 v[0:1], v[173:174], s[16:17], v[0:1]
	v_add_f64 v[0:1], v[0:1], v[4:5]
	v_mul_f64 v[4:5], v[233:234], s[44:45]
	buffer_store_dword v4, off, s[60:63], 0 offset:520 ; 4-byte Folded Spill
	buffer_store_dword v5, off, s[60:63], 0 offset:524 ; 4-byte Folded Spill
	v_fma_f64 v[2:3], v[177:178], s[16:17], -v[2:3]
	v_add_f64 v[2:3], v[2:3], v[6:7]
	v_mul_f64 v[6:7], v[231:232], s[44:45]
	buffer_store_dword v6, off, s[60:63], 0 offset:528 ; 4-byte Folded Spill
	buffer_store_dword v7, off, s[60:63], 0 offset:532 ; 4-byte Folded Spill
	v_fma_f64 v[4:5], v[173:174], s[0:1], v[4:5]
	v_add_f64 v[4:5], v[4:5], v[207:208]
	v_mul_f64 v[207:208], v[233:234], s[30:31]
	v_fma_f64 v[211:212], v[173:174], s[10:11], v[207:208]
	v_fma_f64 v[6:7], v[177:178], s[0:1], -v[6:7]
	v_add_f64 v[8:9], v[211:212], v[8:9]
	v_fma_f64 v[211:212], v[177:178], s[10:11], -v[78:79]
	v_add_f64 v[6:7], v[6:7], v[209:210]
	v_mul_f64 v[209:210], v[233:234], s[38:39]
	v_add_f64 v[10:11], v[211:212], v[10:11]
	v_mul_f64 v[211:212], v[231:232], s[38:39]
	v_fma_f64 v[217:218], v[173:174], s[4:5], v[209:210]
	buffer_store_dword v8, off, s[60:63], 0 ; 4-byte Folded Spill
	buffer_store_dword v9, off, s[60:63], 0 offset:4 ; 4-byte Folded Spill
	buffer_store_dword v10, off, s[60:63], 0 offset:8 ; 4-byte Folded Spill
	;; [unrolled: 1-line block ×3, first 2 shown]
	v_add_f64 v[8:9], v[217:218], v[12:13]
	v_fma_f64 v[217:218], v[177:178], s[4:5], -v[211:212]
	v_mul_f64 v[12:13], v[233:234], s[26:27]
	v_add_f64 v[10:11], v[217:218], v[14:15]
	v_mul_f64 v[14:15], v[231:232], s[26:27]
	v_fma_f64 v[223:224], v[173:174], s[18:19], v[12:13]
	buffer_store_dword v8, off, s[60:63], 0 offset:16 ; 4-byte Folded Spill
	buffer_store_dword v9, off, s[60:63], 0 offset:20 ; 4-byte Folded Spill
	;; [unrolled: 1-line block ×4, first 2 shown]
	v_mul_f64 v[231:232], v[231:232], s[36:37]
	v_add_f64 v[8:9], v[223:224], v[16:17]
	v_fma_f64 v[223:224], v[177:178], s[18:19], -v[14:15]
	v_add_f64 v[10:11], v[223:224], v[18:19]
	v_mul_f64 v[223:224], v[233:234], s[28:29]
	buffer_store_dword v8, off, s[60:63], 0 offset:48 ; 4-byte Folded Spill
	buffer_store_dword v9, off, s[60:63], 0 offset:52 ; 4-byte Folded Spill
	;; [unrolled: 1-line block ×4, first 2 shown]
	v_fma_f64 v[227:228], v[173:174], s[8:9], v[223:224]
	v_add_f64 v[8:9], v[227:228], v[20:21]
	v_fma_f64 v[227:228], v[177:178], s[8:9], -v[225:226]
	v_add_f64 v[10:11], v[227:228], v[22:23]
	v_mul_f64 v[227:228], v[233:234], s[24:25]
	buffer_store_dword v8, off, s[60:63], 0 offset:64 ; 4-byte Folded Spill
	buffer_store_dword v9, off, s[60:63], 0 offset:68 ; 4-byte Folded Spill
	;; [unrolled: 1-line block ×4, first 2 shown]
	v_fma_f64 v[239:240], v[173:174], s[22:23], v[227:228]
	v_mul_f64 v[233:234], v[233:234], s[36:37]
	v_add_f64 v[8:9], v[239:240], v[24:25]
	v_fma_f64 v[239:240], v[177:178], s[22:23], -v[229:230]
	v_add_f64 v[10:11], v[239:240], v[26:27]
	v_fma_f64 v[239:240], v[173:174], s[20:21], -v[233:234]
	v_fma_f64 v[233:234], v[173:174], s[20:21], v[233:234]
	buffer_store_dword v8, off, s[60:63], 0 offset:32 ; 4-byte Folded Spill
	buffer_store_dword v9, off, s[60:63], 0 offset:36 ; 4-byte Folded Spill
	;; [unrolled: 1-line block ×4, first 2 shown]
	v_add_f64 v[96:97], v[239:240], v[96:97]
	v_fma_f64 v[239:240], v[177:178], s[20:21], v[231:232]
	v_fma_f64 v[231:232], v[177:178], s[20:21], -v[231:232]
	v_add_f64 v[100:101], v[233:234], v[100:101]
	s_waitcnt lgkmcnt(0)
	s_waitcnt_vscnt null, 0x0
	s_barrier
	buffer_gl0_inv
	v_add_f64 v[98:99], v[239:240], v[98:99]
	v_add_f64 v[102:103], v[231:232], v[102:103]
	v_mul_lo_u16 v231, v255, 17
	s_and_saveexec_b32 s24, vcc_lo
	s_cbranch_execz .LBB0_7
; %bb.6:
	v_mov_b32_e32 v21, v13
	s_clause 0x1
	buffer_load_dword v8, off, s[60:63], 0 offset:512
	buffer_load_dword v9, off, s[60:63], 0 offset:516
	v_mov_b32_e32 v20, v12
	s_clause 0x1
	buffer_load_dword v12, off, s[60:63], 0 offset:464
	buffer_load_dword v13, off, s[60:63], 0 offset:468
	v_add_f64 v[54:55], v[38:39], v[54:55]
	v_add_f64 v[52:53], v[36:37], v[52:53]
	v_mov_b32_e32 v16, v209
	v_mov_b32_e32 v18, v211
	;; [unrolled: 1-line block ×6, first 2 shown]
	v_mul_f64 v[232:233], v[157:158], s[4:5]
	v_mul_f64 v[239:240], v[104:105], s[10:11]
	v_mov_b32_e32 v234, v241
	v_mov_b32_e32 v218, v140
	;; [unrolled: 1-line block ×7, first 2 shown]
	v_add_f64 v[54:55], v[54:55], v[58:59]
	v_mul_f64 v[58:59], v[108:109], s[22:23]
	v_add_f64 v[52:53], v[52:53], v[56:57]
	v_mul_f64 v[56:57], v[110:111], s[22:23]
	;; [unrolled: 2-line block ×4, first 2 shown]
	v_add_f64 v[56:57], v[183:184], v[56:57]
	v_add_f64 v[54:55], v[54:55], v[70:71]
	v_mul_f64 v[70:71], v[108:109], s[4:5]
	v_add_f64 v[52:53], v[52:53], v[68:69]
	v_add_f64 v[62:63], v[62:63], -v[76:77]
	v_mul_f64 v[68:69], v[110:111], s[4:5]
	v_add_f64 v[56:57], v[38:39], v[56:57]
	v_mov_b32_e32 v76, v207
	v_mov_b32_e32 v77, v208
	v_mov_b32_e32 v207, v130
	v_mov_b32_e32 v206, v129
	v_mov_b32_e32 v209, v136
	v_mov_b32_e32 v208, v135
	v_add_f64 v[54:55], v[54:55], v[74:75]
	v_mul_f64 v[74:75], v[108:109], s[0:1]
	v_add_f64 v[52:53], v[52:53], v[72:73]
	v_add_f64 v[70:71], v[70:71], -v[145:146]
	v_add_f64 v[62:63], v[36:37], v[62:63]
	v_mul_f64 v[72:73], v[110:111], s[0:1]
	v_add_f64 v[68:69], v[149:150], v[68:69]
	v_mov_b32_e32 v149, v251
	v_mov_b32_e32 v150, v252
	v_mul_f64 v[251:252], v[157:158], s[22:23]
	v_add_f64 v[54:55], v[54:55], v[181:182]
	v_add_f64 v[74:75], v[74:75], -v[137:138]
	v_add_f64 v[52:53], v[52:53], v[179:180]
	v_add_f64 v[70:71], v[36:37], v[70:71]
	;; [unrolled: 1-line block ×7, first 2 shown]
	v_mov_b32_e32 v194, v144
	v_mov_b32_e32 v193, v143
	v_add_f64 v[72:73], v[38:39], v[72:73]
	v_add_f64 v[54:55], v[54:55], v[86:87]
	;; [unrolled: 1-line block ×8, first 2 shown]
	v_mul_f64 v[66:67], v[108:109], s[8:9]
	v_add_f64 v[52:53], v[52:53], v[64:65]
	v_mul_f64 v[64:65], v[110:111], s[8:9]
	v_add_f64 v[50:51], v[54:55], v[50:51]
	v_mul_f64 v[54:55], v[108:109], s[18:19]
	v_add_f64 v[66:67], v[66:67], -v[155:156]
	v_add_f64 v[48:49], v[52:53], v[48:49]
	v_mul_f64 v[52:53], v[110:111], s[18:19]
	v_add_f64 v[64:65], v[167:168], v[64:65]
	v_mov_b32_e32 v155, v247
	v_mov_b32_e32 v156, v248
	v_mul_f64 v[247:248], v[106:107], s[16:17]
	v_add_f64 v[46:47], v[50:51], v[46:47]
	v_mul_f64 v[50:51], v[108:109], s[10:11]
	v_add_f64 v[54:55], v[54:55], -v[187:188]
	v_add_f64 v[66:67], v[36:37], v[66:67]
	v_add_f64 v[44:45], v[48:49], v[44:45]
	v_mul_f64 v[48:49], v[110:111], s[10:11]
	v_add_f64 v[64:65], v[38:39], v[64:65]
	v_mov_b32_e32 v188, v148
	v_mov_b32_e32 v187, v147
	v_add_f64 v[26:27], v[46:47], v[42:43]
	v_add_f64 v[50:51], v[50:51], -v[82:83]
	v_add_f64 v[54:55], v[36:37], v[54:55]
	v_mul_f64 v[42:43], v[80:81], s[16:17]
	v_add_f64 v[48:49], v[203:204], v[48:49]
	v_mov_b32_e32 v205, v125
	v_mov_b32_e32 v204, v124
	;; [unrolled: 1-line block ×4, first 2 shown]
	v_mul_f64 v[241:242], v[219:220], s[8:9]
	v_add_f64 v[50:51], v[36:37], v[50:51]
	v_add_f64 v[92:93], v[42:43], -v[163:164]
	v_mul_f64 v[42:43], v[215:216], s[0:1]
	v_add_f64 v[48:49], v[38:39], v[48:49]
	s_waitcnt vmcnt(2)
	v_add_f64 v[52:53], v[8:9], v[52:53]
	v_add_f64 v[112:113], v[112:113], v[241:242]
	s_waitcnt vmcnt(0)
	v_add_f64 v[58:59], v[58:59], -v[12:13]
	s_clause 0x1
	buffer_load_dword v12, off, s[60:63], 0 offset:456
	buffer_load_dword v13, off, s[60:63], 0 offset:460
	v_mul_f64 v[241:242], v[189:190], s[0:1]
	v_add_f64 v[94:95], v[42:43], -v[122:123]
	v_mul_f64 v[42:43], v[185:186], s[18:19]
	v_add_f64 v[52:53], v[38:39], v[52:53]
	v_add_f64 v[58:59], v[36:37], v[58:59]
	v_mul_f64 v[36:37], v[177:178], s[22:23]
	v_add_f64 v[8:9], v[229:230], v[36:37]
	v_mul_f64 v[36:37], v[237:238], s[4:5]
	v_mul_f64 v[229:230], v[215:216], s[16:17]
	buffer_store_dword v8, off, s[60:63], 0 offset:456 ; 4-byte Folded Spill
	buffer_store_dword v9, off, s[60:63], 0 offset:460 ; 4-byte Folded Spill
	v_add_f64 v[10:11], v[201:202], v[36:37]
	v_mul_f64 v[36:37], v[243:244], s[16:17]
	v_mul_f64 v[201:202], v[104:105], s[22:23]
	v_add_f64 v[114:115], v[229:230], -v[114:115]
	v_mul_f64 v[229:230], v[185:186], s[8:9]
	v_mov_b32_e32 v8, v171
	v_mov_b32_e32 v9, v172
	v_add_f64 v[82:83], v[169:170], v[36:37]
	v_mul_f64 v[36:37], v[219:220], s[0:1]
	v_add_f64 v[84:85], v[126:127], v[36:37]
	v_mul_f64 v[36:37], v[189:190], s[18:19]
	s_waitcnt vmcnt(0)
	v_add_f64 v[60:61], v[12:13], v[60:61]
	v_add_f64 v[12:13], v[44:45], v[40:41]
	s_clause 0x1
	buffer_load_dword v40, off, s[60:63], 0 offset:376
	buffer_load_dword v41, off, s[60:63], 0 offset:380
	v_add_f64 v[60:61], v[38:39], v[60:61]
	s_waitcnt vmcnt(0)
	v_add_f64 v[86:87], v[40:41], v[36:37]
	s_clause 0x1
	buffer_load_dword v40, off, s[60:63], 0 offset:264
	buffer_load_dword v41, off, s[60:63], 0 offset:268
	v_mul_f64 v[36:37], v[159:160], s[20:21]
	s_waitcnt vmcnt(0)
	v_add_f64 v[88:89], v[40:41], v[36:37]
	s_clause 0x3
	buffer_load_dword v40, off, s[60:63], 0 offset:152
	buffer_load_dword v41, off, s[60:63], 0 offset:156
	;; [unrolled: 1-line block ×4, first 2 shown]
	v_mul_f64 v[36:37], v[106:107], s[8:9]
	s_waitcnt vmcnt(2)
	v_add_f64 v[90:91], v[40:41], v[36:37]
	s_waitcnt vmcnt(0)
	v_add_f64 v[108:109], v[42:43], -v[44:45]
	s_clause 0x1
	buffer_load_dword v44, off, s[60:63], 0 offset:256
	buffer_load_dword v45, off, s[60:63], 0 offset:260
	v_mul_f64 v[42:43], v[157:158], s[20:21]
	v_mul_f64 v[40:41], v[131:132], s[4:5]
	;; [unrolled: 1-line block ×3, first 2 shown]
	v_add_f64 v[48:49], v[90:91], v[48:49]
	v_mul_f64 v[90:91], v[80:81], s[0:1]
	v_add_f64 v[40:41], v[40:41], -v[199:200]
	v_mul_f64 v[199:200], v[157:158], s[0:1]
	v_add_f64 v[24:25], v[36:37], -v[227:228]
	v_mul_f64 v[227:228], v[106:107], s[10:11]
	v_mov_b32_e32 v39, v7
	v_mov_b32_e32 v38, v6
	;; [unrolled: 1-line block ×8, first 2 shown]
	v_mul_f64 v[245:246], v[159:160], s[22:23]
	v_mov_b32_e32 v6, v165
	v_mov_b32_e32 v7, v166
	;; [unrolled: 1-line block ×4, first 2 shown]
	v_mul_f64 v[249:250], v[215:216], s[8:9]
	v_add_f64 v[48:49], v[88:89], v[48:49]
	v_mul_f64 v[88:89], v[243:244], s[22:23]
	v_add_f64 v[90:91], v[90:91], -v[217:218]
	v_add_f64 v[249:250], v[249:250], -v[253:254]
	v_mul_f64 v[253:254], v[185:186], s[0:1]
	v_add_f64 v[48:49], v[86:87], v[48:49]
	v_mul_f64 v[86:87], v[80:81], s[22:23]
	v_add_f64 v[88:89], v[210:211], v[88:89]
	v_add_f64 v[48:49], v[84:85], v[48:49]
	v_mul_f64 v[84:85], v[243:244], s[18:19]
	v_add_f64 v[86:87], v[86:87], -v[208:209]
	v_add_f64 v[48:49], v[82:83], v[48:49]
	v_mul_f64 v[82:83], v[80:81], s[18:19]
	v_add_f64 v[84:85], v[206:207], v[84:85]
	v_add_f64 v[48:49], v[10:11], v[48:49]
	v_add_f64 v[82:83], v[82:83], -v[204:205]
	s_waitcnt vmcnt(0)
	v_add_f64 v[110:111], v[42:43], -v[44:45]
	s_clause 0x3
	buffer_load_dword v44, off, s[60:63], 0 offset:144
	buffer_load_dword v45, off, s[60:63], 0 offset:148
	;; [unrolled: 1-line block ×4, first 2 shown]
	v_mul_f64 v[42:43], v[104:105], s[8:9]
	s_waitcnt vmcnt(2)
	v_add_f64 v[122:123], v[42:43], -v[44:45]
	v_mul_f64 v[44:45], v[237:238], s[16:17]
	v_mul_f64 v[42:43], v[177:178], s[8:9]
	v_add_f64 v[50:51], v[122:123], v[50:51]
	v_add_f64 v[126:127], v[197:198], v[44:45]
	v_mul_f64 v[44:45], v[243:244], s[4:5]
	v_add_f64 v[42:43], v[225:226], v[42:43]
	v_mul_f64 v[225:226], v[159:160], s[4:5]
	;; [unrolled: 2-line block ×7, first 2 shown]
	v_add_f64 v[108:109], v[108:109], -v[8:9]
	s_waitcnt vmcnt(0)
	v_add_f64 v[163:164], v[46:47], v[44:45]
	s_clause 0x1
	buffer_load_dword v46, off, s[60:63], 0 offset:248
	buffer_load_dword v47, off, s[60:63], 0 offset:252
	v_mul_f64 v[44:45], v[159:160], s[0:1]
	v_add_f64 v[50:51], v[92:93], v[50:51]
	v_mul_f64 v[92:93], v[131:132], s[0:1]
	s_waitcnt vmcnt(0)
	v_add_f64 v[169:170], v[46:47], v[44:45]
	s_clause 0x3
	buffer_load_dword v46, off, s[60:63], 0 offset:136
	buffer_load_dword v47, off, s[60:63], 0 offset:140
	buffer_load_dword v124, off, s[60:63], 0 offset:352
	buffer_load_dword v125, off, s[60:63], 0 offset:356
	v_mul_f64 v[44:45], v[106:107], s[22:23]
	s_waitcnt vmcnt(2)
	v_add_f64 v[197:198], v[46:47], v[44:45]
	v_mul_f64 v[46:47], v[131:132], s[16:17]
	v_mul_f64 v[44:45], v[173:174], s[8:9]
	v_add_f64 v[52:53], v[197:198], v[52:53]
	v_add_f64 v[46:47], v[46:47], -v[195:196]
	v_mul_f64 v[195:196], v[80:81], s[4:5]
	v_add_f64 v[44:45], v[44:45], -v[223:224]
	v_mul_f64 v[223:224], v[219:220], s[16:17]
	v_add_f64 v[52:53], v[169:170], v[52:53]
	v_add_f64 v[151:152], v[195:196], -v[151:152]
	v_mul_f64 v[195:196], v[215:216], s[20:21]
	v_add_f64 v[116:117], v[116:117], v[223:224]
	v_mul_f64 v[223:224], v[189:190], s[8:9]
	v_add_f64 v[52:53], v[163:164], v[52:53]
	v_add_f64 v[118:119], v[195:196], -v[118:119]
	v_mul_f64 v[195:196], v[185:186], s[10:11]
	v_add_f64 v[52:53], v[120:121], v[52:53]
	s_waitcnt vmcnt(0)
	v_add_f64 v[195:196], v[195:196], -v[124:125]
	s_clause 0x1
	buffer_load_dword v124, off, s[60:63], 0 offset:240
	buffer_load_dword v125, off, s[60:63], 0 offset:244
	v_add_f64 v[52:53], v[161:162], v[52:53]
	v_add_f64 v[52:53], v[126:127], v[52:53]
	s_waitcnt vmcnt(0)
	v_add_f64 v[199:200], v[199:200], -v[124:125]
	s_clause 0x1
	buffer_load_dword v124, off, s[60:63], 0 offset:128
	buffer_load_dword v125, off, s[60:63], 0 offset:132
	s_waitcnt vmcnt(0)
	v_add_f64 v[201:202], v[201:202], -v[124:125]
	s_clause 0x1
	buffer_load_dword v124, off, s[60:63], 0 offset:344
	buffer_load_dword v125, off, s[60:63], 0 offset:348
	v_add_f64 v[54:55], v[201:202], v[54:55]
	v_add_f64 v[54:55], v[199:200], v[54:55]
	;; [unrolled: 1-line block ×4, first 2 shown]
	v_mul_f64 v[118:119], v[173:174], s[16:17]
	v_add_f64 v[54:55], v[151:152], v[54:55]
	s_waitcnt vmcnt(0)
	v_add_f64 v[223:224], v[124:125], v[223:224]
	s_clause 0x1
	buffer_load_dword v124, off, s[60:63], 0 offset:232
	buffer_load_dword v125, off, s[60:63], 0 offset:236
	s_waitcnt vmcnt(0)
	v_add_f64 v[225:226], v[124:125], v[225:226]
	s_clause 0x1
	buffer_load_dword v124, off, s[60:63], 0 offset:120
	buffer_load_dword v125, off, s[60:63], 0 offset:124
	;; [unrolled: 5-line block ×3, first 2 shown]
	v_add_f64 v[56:57], v[227:228], v[56:57]
	v_add_f64 v[56:57], v[225:226], v[56:57]
	;; [unrolled: 1-line block ×4, first 2 shown]
	v_mul_f64 v[116:117], v[177:178], s[16:17]
	s_waitcnt vmcnt(0)
	v_add_f64 v[229:230], v[229:230], -v[124:125]
	s_clause 0x1
	buffer_load_dword v124, off, s[60:63], 0 offset:224
	buffer_load_dword v125, off, s[60:63], 0 offset:228
	s_waitcnt vmcnt(0)
	v_add_f64 v[232:233], v[232:233], -v[124:125]
	s_clause 0x1
	buffer_load_dword v124, off, s[60:63], 0 offset:112
	buffer_load_dword v125, off, s[60:63], 0 offset:116
	;; [unrolled: 5-line block ×3, first 2 shown]
	v_add_f64 v[58:59], v[239:240], v[58:59]
	v_add_f64 v[58:59], v[232:233], v[58:59]
	;; [unrolled: 1-line block ×4, first 2 shown]
	v_mul_f64 v[114:115], v[177:178], s[0:1]
	s_waitcnt vmcnt(0)
	v_add_f64 v[241:242], v[124:125], v[241:242]
	s_clause 0x1
	buffer_load_dword v124, off, s[60:63], 0 offset:216
	buffer_load_dword v125, off, s[60:63], 0 offset:220
	s_waitcnt vmcnt(0)
	v_add_f64 v[245:246], v[124:125], v[245:246]
	s_clause 0x1
	buffer_load_dword v124, off, s[60:63], 0 offset:104
	buffer_load_dword v125, off, s[60:63], 0 offset:108
	;; [unrolled: 5-line block ×3, first 2 shown]
	v_add_f64 v[60:61], v[247:248], v[60:61]
	v_add_f64 v[60:61], v[245:246], v[60:61]
	v_add_f64 v[60:61], v[241:242], v[60:61]
	v_mov_b32_e32 v242, v231
	v_mov_b32_e32 v231, v203
	;; [unrolled: 1-line block ×3, first 2 shown]
	v_add_f64 v[60:61], v[112:113], v[60:61]
	s_waitcnt vmcnt(0)
	v_add_f64 v[253:254], v[253:254], -v[124:125]
	s_clause 0x11
	buffer_load_dword v124, off, s[60:63], 0 offset:208
	buffer_load_dword v125, off, s[60:63], 0 offset:212
	;; [unrolled: 1-line block ×18, first 2 shown]
	s_waitcnt vmcnt(16)
	v_add_f64 v[251:252], v[251:252], -v[124:125]
	v_mul_f64 v[124:125], v[104:105], s[16:17]
	s_waitcnt vmcnt(14)
	v_add_f64 v[124:125], v[124:125], -v[129:130]
	v_mul_f64 v[129:130], v[219:220], s[4:5]
	v_add_f64 v[62:63], v[124:125], v[62:63]
	s_waitcnt vmcnt(12)
	v_add_f64 v[129:130], v[135:136], v[129:130]
	v_mul_f64 v[135:136], v[189:190], s[22:23]
	v_add_f64 v[62:63], v[251:252], v[62:63]
	s_waitcnt vmcnt(10)
	v_add_f64 v[135:136], v[137:138], v[135:136]
	;; [unrolled: 4-line block ×4, first 2 shown]
	v_mul_f64 v[141:142], v[185:186], s[22:23]
	v_add_f64 v[64:65], v[139:140], v[64:65]
	s_waitcnt vmcnt(4)
	v_add_f64 v[141:142], v[141:142], -v[143:144]
	v_mul_f64 v[143:144], v[104:105], s[18:19]
	v_add_f64 v[64:65], v[137:138], v[64:65]
	s_waitcnt vmcnt(2)
	v_add_f64 v[143:144], v[143:144], -v[145:146]
	v_mul_f64 v[145:146], v[159:160], s[18:19]
	v_mul_f64 v[159:160], v[159:160], s[8:9]
	v_add_f64 v[64:65], v[135:136], v[64:65]
	v_add_f64 v[66:67], v[143:144], v[66:67]
	s_waitcnt vmcnt(0)
	v_add_f64 v[145:146], v[147:148], v[145:146]
	v_mul_f64 v[147:148], v[106:107], s[20:21]
	v_mul_f64 v[106:107], v[106:107], s[4:5]
	v_add_f64 v[64:65], v[129:130], v[64:65]
	v_add_f64 v[147:148], v[149:150], v[147:148]
	;; [unrolled: 1-line block ×3, first 2 shown]
	s_clause 0x1
	buffer_load_dword v155, off, s[60:63], 0 offset:176
	buffer_load_dword v156, off, s[60:63], 0 offset:180
	v_mul_f64 v[149:150], v[104:105], s[20:21]
	v_mul_f64 v[104:105], v[104:105], s[4:5]
	v_add_f64 v[68:69], v[147:148], v[68:69]
	v_add_f64 v[72:73], v[106:107], v[72:73]
	v_mul_f64 v[106:107], v[237:238], s[20:21]
	v_add_f64 v[149:150], v[149:150], -v[165:166]
	v_add_f64 v[104:105], v[104:105], -v[153:154]
	v_mul_f64 v[153:154], v[157:158], s[18:19]
	v_add_f64 v[68:69], v[145:146], v[68:69]
	v_add_f64 v[106:107], v[14:15], v[106:107]
	;; [unrolled: 1-line block ×4, first 2 shown]
	v_mul_f64 v[104:105], v[131:132], s[18:19]
	v_add_f64 v[104:105], v[104:105], -v[133:134]
	s_waitcnt vmcnt(0)
	v_add_f64 v[153:154], v[153:154], -v[155:156]
	s_clause 0x3
	buffer_load_dword v155, off, s[60:63], 0 offset:168
	buffer_load_dword v156, off, s[60:63], 0 offset:172
	buffer_load_dword v165, off, s[60:63], 0 offset:160
	buffer_load_dword v166, off, s[60:63], 0 offset:164
	v_add_f64 v[70:71], v[153:154], v[70:71]
	s_waitcnt vmcnt(2)
	v_add_f64 v[159:160], v[155:156], v[159:160]
	v_mul_f64 v[155:156], v[157:158], s[8:9]
	v_mul_f64 v[157:158], v[157:158], s[16:17]
	v_add_f64 v[72:73], v[159:160], v[72:73]
	s_waitcnt vmcnt(0)
	v_add_f64 v[155:156], v[155:156], -v[165:166]
	s_clause 0x5
	buffer_load_dword v165, off, s[60:63], 0 offset:184
	buffer_load_dword v166, off, s[60:63], 0 offset:188
	;; [unrolled: 1-line block ×6, first 2 shown]
	v_add_f64 v[74:75], v[155:156], v[74:75]
	s_waitcnt vmcnt(4)
	v_add_f64 v[157:158], v[157:158], -v[165:166]
	v_mul_f64 v[165:166], v[189:190], s[16:17]
	v_mul_f64 v[189:190], v[189:190], s[20:21]
	v_add_f64 v[66:67], v[157:158], v[66:67]
	s_waitcnt vmcnt(2)
	v_add_f64 v[165:166], v[167:168], v[165:166]
	v_mul_f64 v[167:168], v[185:186], s[16:17]
	v_mul_f64 v[185:186], v[185:186], s[20:21]
	v_add_f64 v[66:67], v[141:142], v[66:67]
	v_add_f64 v[68:69], v[165:166], v[68:69]
	s_waitcnt vmcnt(0)
	v_add_f64 v[167:168], v[167:168], -v[171:172]
	s_clause 0x1
	buffer_load_dword v171, off, s[60:63], 0 offset:280
	buffer_load_dword v172, off, s[60:63], 0 offset:284
	v_add_f64 v[70:71], v[167:168], v[70:71]
	s_waitcnt vmcnt(0)
	v_add_f64 v[189:190], v[171:172], v[189:190]
	s_clause 0x7
	buffer_load_dword v171, off, s[60:63], 0 offset:272
	buffer_load_dword v172, off, s[60:63], 0 offset:276
	;; [unrolled: 1-line block ×8, first 2 shown]
	v_add_f64 v[72:73], v[189:190], v[72:73]
	s_waitcnt vmcnt(6)
	v_add_f64 v[185:186], v[185:186], -v[171:172]
	v_mul_f64 v[171:172], v[215:216], s[4:5]
	v_add_f64 v[74:75], v[185:186], v[74:75]
	s_waitcnt vmcnt(4)
	v_add_f64 v[171:172], v[171:172], -v[175:176]
	v_mul_f64 v[175:176], v[219:220], s[10:11]
	v_mul_f64 v[219:220], v[219:220], s[22:23]
	v_add_f64 v[66:67], v[171:172], v[66:67]
	s_waitcnt vmcnt(2)
	v_add_f64 v[175:176], v[179:180], v[175:176]
	v_mul_f64 v[179:180], v[215:216], s[10:11]
	v_mul_f64 v[215:216], v[215:216], s[22:23]
	v_add_f64 v[66:67], v[90:91], v[66:67]
	v_add_f64 v[68:69], v[175:176], v[68:69]
	s_waitcnt vmcnt(0)
	v_add_f64 v[179:180], v[179:180], -v[181:182]
	s_clause 0x1
	buffer_load_dword v181, off, s[60:63], 0 offset:392
	buffer_load_dword v182, off, s[60:63], 0 offset:396
	v_mul_f64 v[90:91], v[173:174], s[4:5]
	v_add_f64 v[68:69], v[88:89], v[68:69]
	v_mul_f64 v[88:89], v[131:132], s[8:9]
	v_add_f64 v[70:71], v[179:180], v[70:71]
	v_add_f64 v[90:91], v[90:91], -v[16:17]
	v_add_f64 v[88:89], v[88:89], -v[6:7]
	v_add_f64 v[70:71], v[86:87], v[70:71]
	v_mul_f64 v[86:87], v[177:178], s[4:5]
	v_add_f64 v[70:71], v[88:89], v[70:71]
	v_add_f64 v[86:87], v[18:19], v[86:87]
	s_waitcnt vmcnt(0)
	v_add_f64 v[219:220], v[181:182], v[219:220]
	s_clause 0x7
	buffer_load_dword v181, off, s[60:63], 0 offset:384
	buffer_load_dword v182, off, s[60:63], 0 offset:388
	;; [unrolled: 1-line block ×8, first 2 shown]
	v_add_f64 v[72:73], v[219:220], v[72:73]
	v_add_f64 v[72:73], v[84:85], v[72:73]
	v_mul_f64 v[84:85], v[131:132], s[10:11]
	v_add_f64 v[84:85], v[84:85], -v[4:5]
	s_waitcnt vmcnt(6)
	v_add_f64 v[215:216], v[215:216], -v[181:182]
	v_mul_f64 v[181:182], v[243:244], s[20:21]
	v_add_f64 v[74:75], v[215:216], v[74:75]
	s_waitcnt vmcnt(4)
	v_add_f64 v[181:182], v[183:184], v[181:182]
	v_mul_f64 v[183:184], v[80:81], s[20:21]
	v_add_f64 v[74:75], v[82:83], v[74:75]
	v_add_f64 v[56:57], v[181:182], v[56:57]
	v_add_f64 v[183:184], v[183:184], -v[187:188]
	v_mul_f64 v[187:188], v[243:244], s[10:11]
	v_mul_f64 v[82:83], v[177:178], s[18:19]
	v_add_f64 v[74:75], v[84:85], v[74:75]
	v_add_f64 v[58:59], v[183:184], v[58:59]
	s_waitcnt vmcnt(2)
	v_add_f64 v[187:188], v[191:192], v[187:188]
	v_mul_f64 v[191:192], v[80:81], s[10:11]
	v_mul_f64 v[80:81], v[237:238], s[0:1]
	v_add_f64 v[82:83], v[22:23], v[82:83]
	v_add_f64 v[60:61], v[187:188], v[60:61]
	v_add_f64 v[191:192], v[191:192], -v[193:194]
	s_waitcnt vmcnt(0)
	v_add_f64 v[80:81], v[10:11], v[80:81]
	s_clause 0x1
	buffer_load_dword v10, off, s[60:63], 0 offset:480
	buffer_load_dword v11, off, s[60:63], 0 offset:484
	v_mul_f64 v[193:194], v[243:244], s[0:1]
	v_add_f64 v[62:63], v[191:192], v[62:63]
	v_add_f64 v[56:57], v[80:81], v[56:57]
	v_mul_f64 v[80:81], v[173:174], s[18:19]
	v_add_f64 v[193:194], v[213:214], v[193:194]
	v_add_f64 v[84:85], v[104:105], v[62:63]
	;; [unrolled: 1-line block ×3, first 2 shown]
	v_add_f64 v[80:81], v[80:81], -v[20:21]
	v_add_f64 v[64:65], v[193:194], v[64:65]
	v_add_f64 v[40:41], v[42:43], v[52:53]
	;; [unrolled: 1-line block ×4, first 2 shown]
	v_mul_f64 v[106:107], v[173:174], s[10:11]
	v_add_f64 v[106:107], v[106:107], -v[76:77]
	v_add_f64 v[76:77], v[12:13], v[32:33]
	s_waitcnt vmcnt(0)
	v_add_f64 v[92:93], v[92:93], -v[10:11]
	s_clause 0x1
	buffer_load_dword v10, off, s[60:63], 0 offset:472
	buffer_load_dword v11, off, s[60:63], 0 offset:476
	v_add_f64 v[88:89], v[92:93], v[58:59]
	v_add_f64 v[92:93], v[46:47], v[54:55]
	;; [unrolled: 1-line block ×3, first 2 shown]
	s_waitcnt vmcnt(0)
	v_add_f64 v[94:95], v[10:11], v[94:95]
	s_clause 0x17
	buffer_load_dword v120, off, s[60:63], 0
	buffer_load_dword v121, off, s[60:63], 0 offset:4
	buffer_load_dword v122, off, s[60:63], 0 offset:8
	;; [unrolled: 1-line block ×23, first 2 shown]
	v_add_f64 v[60:61], v[94:95], v[60:61]
	v_mul_f64 v[94:95], v[177:178], s[10:11]
	v_add_f64 v[52:53], v[86:87], v[60:61]
	v_add_f64 v[94:95], v[78:79], v[94:95]
	;; [unrolled: 1-line block ×4, first 2 shown]
	v_and_b32_e32 v28, 0xffff, v231
	v_add_lshl_u32 v28, v236, v28, 4
	v_add_f64 v[54:55], v[106:107], v[78:79]
	s_waitcnt vmcnt(2)
	v_add_f64 v[110:111], v[112:113], v[110:111]
	s_waitcnt vmcnt(0)
	v_add_f64 v[114:115], v[4:5], v[114:115]
	s_clause 0x1
	buffer_load_dword v4, off, s[60:63], 0 offset:520
	buffer_load_dword v5, off, s[60:63], 0 offset:524
	v_mul_f64 v[112:113], v[237:238], s[10:11]
	v_add_f64 v[68:69], v[110:111], v[68:69]
	v_mul_f64 v[110:111], v[173:174], s[0:1]
	v_add_f64 v[112:113], v[221:222], v[112:113]
	v_add_f64 v[60:61], v[114:115], v[68:69]
	;; [unrolled: 1-line block ×3, first 2 shown]
	s_waitcnt vmcnt(0)
	v_add_f64 v[110:111], v[110:111], -v[4:5]
	s_clause 0x1
	buffer_load_dword v4, off, s[60:63], 0 offset:504
	buffer_load_dword v5, off, s[60:63], 0 offset:508
	v_add_f64 v[58:59], v[110:111], v[70:71]
	s_waitcnt vmcnt(0)
	v_add_f64 v[116:117], v[4:5], v[116:117]
	s_clause 0x3
	buffer_load_dword v4, off, s[60:63], 0 offset:496
	buffer_load_dword v5, off, s[60:63], 0 offset:500
	;; [unrolled: 1-line block ×4, first 2 shown]
	s_waitcnt vmcnt(2)
	v_add_f64 v[112:113], v[118:119], -v[4:5]
	v_add_f64 v[4:5], v[26:27], v[34:35]
	s_waitcnt vmcnt(0)
	v_add_f64 v[32:33], v[6:7], v[48:49]
	v_add_f64 v[48:49], v[82:83], v[56:57]
	;; [unrolled: 1-line block ×6, first 2 shown]
	v_mov_b32_e32 v4, v36
	v_mov_b32_e32 v5, v37
	;; [unrolled: 1-line block ×4, first 2 shown]
	v_add_f64 v[38:39], v[44:45], v[92:93]
	v_add_f64 v[30:31], v[24:25], v[104:105]
	ds_write_b128 v28, v[66:69]
	ds_write_b128 v28, v[62:65] offset:16
	ds_write_b128 v28, v[58:61] offset:32
	;; [unrolled: 1-line block ×16, first 2 shown]
.LBB0_7:
	s_or_b32 exec_lo, exec_lo, s24
	v_add_lshl_u32 v194, v236, v255, 4
	s_waitcnt lgkmcnt(0)
	s_waitcnt_vscnt null, 0x0
	s_barrier
	buffer_gl0_inv
	v_cmp_gt_u16_e64 s0, 17, v255
	ds_read_b128 v[48:51], v194
	ds_read_b128 v[52:55], v194 offset:544
	ds_read_b128 v[68:71], v194 offset:2448
	;; [unrolled: 1-line block ×7, first 2 shown]
	s_and_saveexec_b32 s1, s0
	s_cbranch_execz .LBB0_9
; %bb.8:
	ds_read_b128 v[96:99], v194 offset:2176
	ds_read_b128 v[100:103], v194 offset:4624
.LBB0_9:
	s_or_b32 exec_lo, exec_lo, s1
	v_add_nc_u16 v30, v255, 34
	v_add_nc_u16 v31, v255, 0x44
	v_add_nc_u16 v32, v255, 0x66
	v_add_co_u32 v34, s1, 0xffffffef, v255
	v_and_b32_e32 v28, 0xff, v30
	v_and_b32_e32 v29, 0xff, v31
	;; [unrolled: 1-line block ×3, first 2 shown]
	v_add_co_ci_u32_e64 v35, null, 0, -1, s1
	v_mul_lo_u16 v28, 0xf1, v28
	v_mul_lo_u16 v29, 0xf1, v29
	v_mul_lo_u16 v33, 0xf1, v33
	v_cndmask_b32_e64 v85, v35, 0, s0
	v_cndmask_b32_e64 v84, v34, v255, s0
	v_lshrrev_b16 v95, 12, v28
	v_lshrrev_b16 v106, 12, v29
	;; [unrolled: 1-line block ×3, first 2 shown]
	v_add_nc_u16 v80, v255, 0x88
	v_lshlrev_b64 v[28:29], 4, v[84:85]
	v_mul_lo_u16 v33, v95, 17
	v_mul_lo_u16 v34, v106, 17
	;; [unrolled: 1-line block ×3, first 2 shown]
	v_mov_b32_e32 v36, 4
	v_add_co_u32 v28, s1, s2, v28
	v_sub_nc_u16 v108, v30, v33
	v_and_b32_e32 v30, 0xff, v80
	v_sub_nc_u16 v109, v31, v34
	v_add_co_ci_u32_e64 v29, s1, s3, v29, s1
	v_sub_nc_u16 v110, v32, v35
	v_mul_lo_u16 v30, 0xf1, v30
	v_lshlrev_b32_sdwa v31, v36, v108 dst_sel:DWORD dst_unused:UNUSED_PAD src0_sel:DWORD src1_sel:BYTE_0
	v_lshlrev_b32_sdwa v32, v36, v109 dst_sel:DWORD dst_unused:UNUSED_PAD src0_sel:DWORD src1_sel:BYTE_0
	global_load_dwordx4 v[40:43], v[28:29], off
	v_lshlrev_b32_sdwa v28, v36, v110 dst_sel:DWORD dst_unused:UNUSED_PAD src0_sel:DWORD src1_sel:BYTE_0
	v_lshrrev_b16 v29, 12, v30
	s_clause 0x1
	global_load_dwordx4 v[44:47], v31, s[2:3]
	global_load_dwordx4 v[32:35], v32, s[2:3]
	s_load_dwordx4 s[4:7], s[6:7], 0x0
	v_cmp_lt_u16_e64 s1, 16, v255
	global_load_dwordx4 v[36:39], v28, s[2:3]
	v_mul_lo_u16 v28, v29, 17
	v_sub_nc_u16 v28, v80, v28
	v_and_b32_e32 v195, 0xff, v28
	v_lshlrev_b32_e32 v28, 4, v195
	global_load_dwordx4 v[28:31], v28, s[2:3]
	s_waitcnt vmcnt(0) lgkmcnt(0)
	s_barrier
	buffer_gl0_inv
	v_mul_f64 v[80:81], v[70:71], v[42:43]
	v_mul_f64 v[82:83], v[68:69], v[42:43]
	v_mul_f64 v[85:86], v[66:67], v[46:47]
	v_mul_f64 v[87:88], v[64:65], v[46:47]
	v_mul_f64 v[89:90], v[78:79], v[34:35]
	v_mul_f64 v[91:92], v[76:77], v[34:35]
	v_mul_f64 v[93:94], v[74:75], v[38:39]
	v_mul_f64 v[104:105], v[72:73], v[38:39]
	v_fma_f64 v[68:69], v[68:69], v[40:41], -v[80:81]
	v_fma_f64 v[70:71], v[70:71], v[40:41], v[82:83]
	v_fma_f64 v[80:81], v[64:65], v[44:45], -v[85:86]
	v_fma_f64 v[82:83], v[66:67], v[44:45], v[87:88]
	;; [unrolled: 2-line block ×3, first 2 shown]
	v_mul_f64 v[89:90], v[102:103], v[30:31]
	v_mul_f64 v[91:92], v[100:101], v[30:31]
	v_fma_f64 v[85:86], v[72:73], v[36:37], -v[93:94]
	v_fma_f64 v[87:88], v[74:75], v[36:37], v[104:105]
	v_add_f64 v[64:65], v[48:49], -v[68:69]
	v_add_f64 v[66:67], v[50:51], -v[70:71]
	;; [unrolled: 1-line block ×6, first 2 shown]
	v_fma_f64 v[80:81], v[100:101], v[28:29], -v[89:90]
	v_fma_f64 v[82:83], v[102:103], v[28:29], v[91:92]
	v_add_f64 v[76:77], v[60:61], -v[85:86]
	v_add_f64 v[78:79], v[62:63], -v[87:88]
	v_mov_b32_e32 v85, 34
	v_cndmask_b32_e64 v86, 0, 34, s1
	v_mad_u16 v88, v95, 34, v108
	v_mul_u32_u24_sdwa v87, v106, v85 dst_sel:DWORD dst_unused:UNUSED_PAD src0_sel:WORD_0 src1_sel:DWORD
	v_mul_u32_u24_sdwa v85, v107, v85 dst_sel:DWORD dst_unused:UNUSED_PAD src0_sel:WORD_0 src1_sel:DWORD
	v_add_nc_u32_e32 v84, v84, v86
	v_add_nc_u32_sdwa v86, v87, v109 dst_sel:DWORD dst_unused:UNUSED_PAD src0_sel:DWORD src1_sel:BYTE_0
	v_add_nc_u32_sdwa v85, v85, v110 dst_sel:DWORD dst_unused:UNUSED_PAD src0_sel:DWORD src1_sel:BYTE_0
	v_fma_f64 v[48:49], v[48:49], 2.0, -v[64:65]
	v_fma_f64 v[50:51], v[50:51], 2.0, -v[66:67]
	;; [unrolled: 1-line block ×6, first 2 shown]
	v_add_f64 v[80:81], v[96:97], -v[80:81]
	v_add_f64 v[82:83], v[98:99], -v[82:83]
	v_fma_f64 v[60:61], v[60:61], 2.0, -v[76:77]
	v_fma_f64 v[62:63], v[62:63], 2.0, -v[78:79]
	v_and_b32_e32 v87, 0xff, v88
	v_add_lshl_u32 v199, v236, v84, 4
	v_add_lshl_u32 v197, v236, v86, 4
	;; [unrolled: 1-line block ×4, first 2 shown]
	ds_write_b128 v199, v[64:67] offset:272
	ds_write_b128 v199, v[48:51]
	ds_write_b128 v198, v[68:71] offset:272
	ds_write_b128 v198, v[52:55]
	ds_write_b128 v197, v[56:59]
	ds_write_b128 v197, v[72:75] offset:272
	ds_write_b128 v196, v[60:63]
	ds_write_b128 v196, v[76:79] offset:272
	s_and_saveexec_b32 s1, s0
	s_cbranch_execz .LBB0_11
; %bb.10:
	v_fma_f64 v[50:51], v[98:99], 2.0, -v[82:83]
	v_fma_f64 v[48:49], v[96:97], 2.0, -v[80:81]
	v_add_lshl_u32 v52, v236, v195, 4
	ds_write_b128 v52, v[48:51] offset:4352
	ds_write_b128 v52, v[80:83] offset:4624
.LBB0_11:
	s_or_b32 exec_lo, exec_lo, s1
	v_lshlrev_b32_e32 v48, 7, v255
	s_waitcnt lgkmcnt(0)
	s_barrier
	buffer_gl0_inv
	s_mov_b32 s8, 0x8c811c17
	s_clause 0x7
	global_load_dwordx4 v[56:59], v48, s[2:3] offset:272
	global_load_dwordx4 v[64:67], v48, s[2:3] offset:384
	;; [unrolled: 1-line block ×8, first 2 shown]
	ds_read_b128 v[84:87], v194 offset:544
	ds_read_b128 v[88:91], v194 offset:4352
	;; [unrolled: 1-line block ×8, first 2 shown]
	s_mov_b32 s3, 0x3fe491b7
	s_mov_b32 s2, 0x523c161c
	;; [unrolled: 1-line block ×7, first 2 shown]
	v_lshl_add_u32 v193, v255, 4, v242
	s_waitcnt vmcnt(7) lgkmcnt(7)
	v_mul_f64 v[116:117], v[86:87], v[58:59]
	v_mul_f64 v[118:119], v[84:85], v[58:59]
	s_waitcnt vmcnt(6) lgkmcnt(6)
	v_mul_f64 v[120:121], v[90:91], v[66:67]
	v_mul_f64 v[122:123], v[88:89], v[66:67]
	;; [unrolled: 3-line block ×6, first 2 shown]
	v_fma_f64 v[116:117], v[84:85], v[56:57], -v[116:117]
	v_fma_f64 v[118:119], v[86:87], v[56:57], v[118:119]
	ds_read_b128 v[84:87], v194
	v_fma_f64 v[88:89], v[88:89], v[64:65], -v[120:121]
	v_fma_f64 v[90:91], v[90:91], v[64:65], v[122:123]
	v_fma_f64 v[92:93], v[92:93], v[60:61], -v[124:125]
	v_fma_f64 v[94:95], v[94:95], v[60:61], v[126:127]
	;; [unrolled: 2-line block ×5, first 2 shown]
	s_waitcnt vmcnt(1) lgkmcnt(2)
	v_mul_f64 v[120:121], v[110:111], v[54:55]
	v_mul_f64 v[122:123], v[108:109], v[54:55]
	s_waitcnt vmcnt(0) lgkmcnt(1)
	v_mul_f64 v[124:125], v[114:115], v[50:51]
	v_mul_f64 v[126:127], v[112:113], v[50:51]
	v_add_f64 v[129:130], v[116:117], -v[88:89]
	v_add_f64 v[131:132], v[118:119], -v[90:91]
	v_add_f64 v[88:89], v[116:117], v[88:89]
	v_add_f64 v[90:91], v[118:119], v[90:91]
	;; [unrolled: 1-line block ×4, first 2 shown]
	v_add_f64 v[133:134], v[92:93], -v[96:97]
	v_add_f64 v[135:136], v[94:95], -v[98:99]
	v_add_f64 v[137:138], v[100:101], v[104:105]
	v_add_f64 v[139:140], v[102:103], v[106:107]
	v_add_f64 v[100:101], v[100:101], -v[104:105]
	v_add_f64 v[102:103], v[102:103], -v[106:107]
	v_fma_f64 v[108:109], v[108:109], v[52:53], -v[120:121]
	v_fma_f64 v[110:111], v[110:111], v[52:53], v[122:123]
	v_fma_f64 v[112:113], v[112:113], v[48:49], -v[124:125]
	v_fma_f64 v[114:115], v[114:115], v[48:49], v[126:127]
	v_mul_f64 v[104:105], v[129:130], s[2:3]
	v_mul_f64 v[106:107], v[131:132], s[2:3]
	s_mov_b32 s3, 0xbfe491b7
	s_waitcnt lgkmcnt(0)
	v_fma_f64 v[120:121], v[88:89], s[10:11], v[84:85]
	v_fma_f64 v[122:123], v[90:91], s[10:11], v[86:87]
	;; [unrolled: 1-line block ×4, first 2 shown]
	v_mul_f64 v[141:142], v[133:134], s[8:9]
	v_mul_f64 v[143:144], v[135:136], s[8:9]
	v_fma_f64 v[145:146], v[137:138], s[10:11], v[84:85]
	v_fma_f64 v[147:148], v[139:140], s[10:11], v[86:87]
	v_mul_f64 v[149:150], v[135:136], s[2:3]
	v_mul_f64 v[151:152], v[133:134], s[2:3]
	v_add_f64 v[157:158], v[137:138], v[88:89]
	v_add_f64 v[153:154], v[108:109], v[112:113]
	v_add_f64 v[155:156], v[110:111], v[114:115]
	v_add_f64 v[159:160], v[139:140], v[90:91]
	v_add_f64 v[108:109], v[108:109], -v[112:113]
	v_add_f64 v[110:111], v[110:111], -v[114:115]
	s_mov_b32 s10, 0xe8584cab
	s_mov_b32 s11, 0x3febb67a
	v_fma_f64 v[104:105], v[100:101], s[8:9], v[104:105]
	v_fma_f64 v[106:107], v[102:103], s[8:9], v[106:107]
	;; [unrolled: 1-line block ×6, first 2 shown]
	v_fma_f64 v[124:125], v[100:101], s[2:3], -v[141:142]
	v_fma_f64 v[126:127], v[102:103], s[2:3], -v[143:144]
	v_fma_f64 v[141:142], v[116:117], s[16:17], v[145:146]
	v_fma_f64 v[143:144], v[118:119], s[16:17], v[147:148]
	v_fma_f64 v[145:146], v[131:132], s[8:9], v[149:150]
	v_fma_f64 v[147:148], v[129:130], s[8:9], v[151:152]
	s_mov_b32 s3, 0xbfebb67a
	s_mov_b32 s2, s10
	v_add_f64 v[149:150], v[133:134], v[129:130]
	v_add_f64 v[151:152], v[135:136], v[131:132]
	;; [unrolled: 1-line block ×8, first 2 shown]
	v_fma_f64 v[104:105], v[108:109], s[10:11], v[104:105]
	v_fma_f64 v[106:107], v[110:111], s[10:11], v[106:107]
	v_fma_f64 v[112:113], v[153:154], -0.5, v[112:113]
	v_fma_f64 v[114:115], v[155:156], -0.5, v[114:115]
	;; [unrolled: 1-line block ×4, first 2 shown]
	v_fma_f64 v[124:125], v[108:109], s[10:11], v[124:125]
	v_fma_f64 v[126:127], v[110:111], s[10:11], v[126:127]
	v_fma_f64 v[141:142], v[153:154], -0.5, v[141:142]
	v_fma_f64 v[143:144], v[155:156], -0.5, v[143:144]
	v_fma_f64 v[110:111], v[110:111], s[2:3], v[145:146]
	v_fma_f64 v[108:109], v[108:109], s[2:3], v[147:148]
	s_mov_b32 s8, 0x748a0bf8
	s_mov_b32 s16, 0x42522d1b
	;; [unrolled: 1-line block ×4, first 2 shown]
	v_add_f64 v[145:146], v[149:150], -v[100:101]
	v_add_f64 v[147:148], v[151:152], -v[102:103]
	v_fma_f64 v[149:150], v[165:166], -0.5, v[161:162]
	v_fma_f64 v[151:152], v[167:168], -0.5, v[163:164]
	v_add_f64 v[92:93], v[92:93], v[157:158]
	v_add_f64 v[94:95], v[94:95], v[159:160]
	v_fma_f64 v[104:105], v[133:134], s[8:9], v[104:105]
	v_fma_f64 v[106:107], v[135:136], s[8:9], v[106:107]
	;; [unrolled: 1-line block ×12, first 2 shown]
	v_mul_f64 v[133:134], v[145:146], s[10:11]
	v_mul_f64 v[135:136], v[147:148], s[10:11]
	v_fma_f64 v[108:109], v[147:148], s[10:11], v[149:150]
	v_fma_f64 v[110:111], v[145:146], s[2:3], v[151:152]
	v_add_f64 v[92:93], v[96:97], v[92:93]
	v_add_f64 v[94:95], v[98:99], v[94:95]
	;; [unrolled: 1-line block ×3, first 2 shown]
	v_add_f64 v[118:119], v[114:115], -v[104:105]
	v_add_f64 v[100:101], v[126:127], v[88:89]
	v_add_f64 v[102:103], v[90:91], -v[124:125]
	v_add_f64 v[112:113], v[129:130], v[120:121]
	v_add_f64 v[114:115], v[122:123], -v[131:132]
	v_fma_f64 v[96:97], v[135:136], -2.0, v[108:109]
	v_fma_f64 v[98:99], v[133:134], 2.0, v[110:111]
	v_add_f64 v[84:85], v[84:85], v[92:93]
	v_add_f64 v[86:87], v[86:87], v[94:95]
	v_fma_f64 v[88:89], v[106:107], -2.0, v[116:117]
	v_fma_f64 v[90:91], v[104:105], 2.0, v[118:119]
	v_fma_f64 v[104:105], v[126:127], -2.0, v[100:101]
	v_fma_f64 v[106:107], v[124:125], 2.0, v[102:103]
	;; [unrolled: 2-line block ×3, first 2 shown]
	ds_write_b128 v193, v[108:111] offset:1632
	ds_write_b128 v193, v[84:87]
	ds_write_b128 v193, v[116:119] offset:544
	ds_write_b128 v193, v[100:103] offset:2176
	;; [unrolled: 1-line block ×7, first 2 shown]
	s_waitcnt lgkmcnt(0)
	s_barrier
	buffer_gl0_inv
	s_and_saveexec_b32 s8, vcc_lo
	s_cbranch_execz .LBB0_13
; %bb.12:
	s_add_u32 s2, s12, 0x1320
	s_addc_u32 s3, s13, 0
	ds_read_b128 v[120:123], v193
	global_load_dwordx4 v[124:127], v235, s[2:3]
	v_add_co_u32 v135, s1, s2, v235
	v_add_co_ci_u32_e64 v136, null, s3, 0, s1
	v_add_co_u32 v133, s1, 0x800, v135
	v_add_co_ci_u32_e64 v134, s1, 0, v136, s1
	s_waitcnt vmcnt(0) lgkmcnt(0)
	v_mul_f64 v[129:130], v[122:123], v[126:127]
	v_fma_f64 v[129:130], v[120:121], v[124:125], -v[129:130]
	v_mul_f64 v[120:121], v[120:121], v[126:127]
	v_fma_f64 v[131:132], v[122:123], v[124:125], v[120:121]
	global_load_dwordx4 v[124:127], v235, s[2:3] offset:288
	ds_read_b128 v[120:123], v193 offset:288
	ds_write_b128 v193, v[129:132]
	s_waitcnt vmcnt(0) lgkmcnt(1)
	v_mul_f64 v[129:130], v[122:123], v[126:127]
	v_fma_f64 v[129:130], v[120:121], v[124:125], -v[129:130]
	v_mul_f64 v[120:121], v[120:121], v[126:127]
	v_fma_f64 v[131:132], v[122:123], v[124:125], v[120:121]
	global_load_dwordx4 v[124:127], v235, s[2:3] offset:576
	ds_read_b128 v[120:123], v193 offset:576
	ds_write_b128 v193, v[129:132] offset:288
	s_waitcnt vmcnt(0) lgkmcnt(1)
	v_mul_f64 v[129:130], v[122:123], v[126:127]
	v_fma_f64 v[129:130], v[120:121], v[124:125], -v[129:130]
	v_mul_f64 v[120:121], v[120:121], v[126:127]
	v_fma_f64 v[131:132], v[122:123], v[124:125], v[120:121]
	global_load_dwordx4 v[124:127], v235, s[2:3] offset:864
	ds_read_b128 v[120:123], v193 offset:864
	ds_write_b128 v193, v[129:132] offset:576
	;; [unrolled: 8-line block ×6, first 2 shown]
	s_waitcnt vmcnt(0) lgkmcnt(1)
	v_mul_f64 v[129:130], v[122:123], v[126:127]
	v_fma_f64 v[129:130], v[120:121], v[124:125], -v[129:130]
	v_mul_f64 v[120:121], v[120:121], v[126:127]
	v_fma_f64 v[131:132], v[122:123], v[124:125], v[120:121]
	global_load_dwordx4 v[124:127], v[133:134], off offset:256
	ds_read_b128 v[120:123], v193 offset:2304
	ds_write_b128 v193, v[129:132] offset:2016
	s_waitcnt vmcnt(0) lgkmcnt(1)
	v_mul_f64 v[129:130], v[122:123], v[126:127]
	v_fma_f64 v[129:130], v[120:121], v[124:125], -v[129:130]
	v_mul_f64 v[120:121], v[120:121], v[126:127]
	v_fma_f64 v[131:132], v[122:123], v[124:125], v[120:121]
	global_load_dwordx4 v[124:127], v[133:134], off offset:544
	ds_read_b128 v[120:123], v193 offset:2592
	ds_write_b128 v193, v[129:132] offset:2304
	;; [unrolled: 8-line block ×7, first 2 shown]
	s_waitcnt vmcnt(0) lgkmcnt(1)
	v_mul_f64 v[129:130], v[122:123], v[126:127]
	v_fma_f64 v[129:130], v[120:121], v[124:125], -v[129:130]
	v_mul_f64 v[120:121], v[120:121], v[126:127]
	v_fma_f64 v[131:132], v[122:123], v[124:125], v[120:121]
	v_add_co_u32 v124, s1, 0x1000, v135
	v_add_co_ci_u32_e64 v125, s1, 0, v136, s1
	ds_read_b128 v[120:123], v193 offset:4320
	global_load_dwordx4 v[124:127], v[124:125], off offset:224
	ds_write_b128 v193, v[129:132] offset:4032
	s_waitcnt vmcnt(0) lgkmcnt(1)
	v_mul_f64 v[129:130], v[122:123], v[126:127]
	v_fma_f64 v[129:130], v[120:121], v[124:125], -v[129:130]
	v_mul_f64 v[120:121], v[120:121], v[126:127]
	v_fma_f64 v[131:132], v[122:123], v[124:125], v[120:121]
	v_or_b32_e32 v124, 0x1200, v235
	ds_read_b128 v[120:123], v193 offset:4608
	global_load_dwordx4 v[124:127], v124, s[2:3]
	ds_write_b128 v193, v[129:132] offset:4320
	s_waitcnt vmcnt(0) lgkmcnt(1)
	v_mul_f64 v[129:130], v[122:123], v[126:127]
	v_fma_f64 v[129:130], v[120:121], v[124:125], -v[129:130]
	v_mul_f64 v[120:121], v[120:121], v[126:127]
	v_fma_f64 v[131:132], v[122:123], v[124:125], v[120:121]
	ds_write_b128 v193, v[129:132] offset:4608
.LBB0_13:
	s_or_b32 exec_lo, exec_lo, s8
	s_waitcnt lgkmcnt(0)
	s_barrier
	buffer_gl0_inv
	s_and_saveexec_b32 s1, vcc_lo
	s_cbranch_execz .LBB0_15
; %bb.14:
	ds_read_b128 v[84:87], v193
	ds_read_b128 v[116:119], v193 offset:288
	ds_read_b128 v[112:115], v193 offset:576
	;; [unrolled: 1-line block ×10, first 2 shown]
	s_waitcnt lgkmcnt(0)
	buffer_store_dword v0, off, s[60:63], 0 offset:32 ; 4-byte Folded Spill
	buffer_store_dword v1, off, s[60:63], 0 offset:36 ; 4-byte Folded Spill
	buffer_store_dword v2, off, s[60:63], 0 offset:40 ; 4-byte Folded Spill
	buffer_store_dword v3, off, s[60:63], 0 offset:44 ; 4-byte Folded Spill
	ds_read_b128 v[0:3], v193 offset:3168
	s_waitcnt lgkmcnt(0)
	buffer_store_dword v0, off, s[60:63], 0 offset:64 ; 4-byte Folded Spill
	buffer_store_dword v1, off, s[60:63], 0 offset:68 ; 4-byte Folded Spill
	buffer_store_dword v2, off, s[60:63], 0 offset:72 ; 4-byte Folded Spill
	buffer_store_dword v3, off, s[60:63], 0 offset:76 ; 4-byte Folded Spill
	ds_read_b128 v[0:3], v193 offset:3456
	;; [unrolled: 6-line block ×4, first 2 shown]
	s_waitcnt lgkmcnt(0)
	buffer_store_dword v0, off, s[60:63], 0 ; 4-byte Folded Spill
	buffer_store_dword v1, off, s[60:63], 0 offset:4 ; 4-byte Folded Spill
	buffer_store_dword v2, off, s[60:63], 0 offset:8 ; 4-byte Folded Spill
	;; [unrolled: 1-line block ×3, first 2 shown]
	ds_read_b128 v[4:7], v193 offset:4320
	ds_read_b128 v[0:3], v193 offset:4608
.LBB0_15:
	s_or_b32 exec_lo, exec_lo, s1
	s_clause 0xb
	buffer_load_dword v24, off, s[60:63], 0
	buffer_load_dword v25, off, s[60:63], 0 offset:4
	buffer_load_dword v26, off, s[60:63], 0 offset:8
	;; [unrolled: 1-line block ×11, first 2 shown]
	s_waitcnt lgkmcnt(0)
	v_add_f64 v[189:190], v[118:119], v[2:3]
	s_mov_b32 s2, 0x7faef3
	s_mov_b32 s3, 0xbfef7484
	v_add_f64 v[191:192], v[116:117], -v[0:1]
	s_mov_b32 s10, 0xacd6c6b4
	s_mov_b32 s20, 0x4363dd80
	;; [unrolled: 1-line block ×8, first 2 shown]
	v_add_f64 v[187:188], v[118:119], -v[2:3]
	v_add_f64 v[185:186], v[116:117], v[0:1]
	v_add_f64 v[131:132], v[114:115], -v[6:7]
	s_mov_b32 s18, 0x5d8e7cdc
	s_mov_b32 s19, 0x3fd71e95
	v_add_f64 v[129:130], v[112:113], v[4:5]
	s_mov_b32 s8, 0x370991
	s_mov_b32 s9, 0x3fedd6d0
	;; [unrolled: 1-line block ×4, first 2 shown]
	v_mul_f64 v[122:123], v[189:190], s[2:3]
	s_mov_b32 s24, 0x2a9d6da3
	s_mov_b32 s35, 0x3fe0d888
	;; [unrolled: 1-line block ×6, first 2 shown]
	v_add_f64 v[133:134], v[114:115], v[6:7]
	v_add_f64 v[135:136], v[112:113], -v[4:5]
	s_mov_b32 s41, 0xbfd71e95
	s_mov_b32 s40, s18
	;; [unrolled: 1-line block ×3, first 2 shown]
	v_mul_f64 v[120:121], v[187:188], s[10:11]
	s_mov_b32 s26, 0x6ed5f1bb
	v_mul_f64 v[124:125], v[131:132], s[18:19]
	s_mov_b32 s29, 0xbfe9895b
	s_mov_b32 s27, 0xbfe348c8
	;; [unrolled: 1-line block ×7, first 2 shown]
	v_fma_f64 v[151:152], v[191:192], s[42:43], v[122:123]
	v_fma_f64 v[122:123], v[191:192], s[10:11], v[122:123]
	s_mov_b32 s56, s28
	s_mov_b32 s46, 0x923c349f
	;; [unrolled: 1-line block ×5, first 2 shown]
	v_mul_f64 v[126:127], v[133:134], s[8:9]
	s_mov_b32 s45, 0xbfd183b1
	s_mov_b32 s48, s38
	;; [unrolled: 1-line block ×4, first 2 shown]
	v_fma_f64 v[147:148], v[185:186], s[2:3], v[120:121]
	v_fma_f64 v[120:121], v[185:186], s[2:3], -v[120:121]
	v_fma_f64 v[159:160], v[129:130], s[8:9], v[124:125]
	v_fma_f64 v[124:125], v[129:130], s[8:9], -v[124:125]
	s_mov_b32 s53, 0x3feec746
	s_mov_b32 s59, 0x3fefdd0d
	s_mov_b32 s51, 0x3fb79ee6
	s_mov_b32 s52, s46
	s_mov_b32 s55, 0xbfefdd0d
	s_mov_b32 s54, s58
	v_add_f64 v[167:168], v[86:87], v[151:152]
	v_add_f64 v[122:123], v[86:87], v[122:123]
	v_fma_f64 v[161:162], v[135:136], s[40:41], v[126:127]
	v_fma_f64 v[126:127], v[135:136], s[18:19], v[126:127]
	v_add_f64 v[163:164], v[84:85], v[147:148]
	v_add_f64 v[120:121], v[84:85], v[120:121]
	;; [unrolled: 1-line block ×6, first 2 shown]
	s_waitcnt vmcnt(8)
	v_add_f64 v[137:138], v[110:111], -v[26:27]
	v_add_f64 v[139:140], v[108:109], v[24:25]
	s_waitcnt vmcnt(0)
	v_add_f64 v[151:152], v[106:107], v[10:11]
	v_add_f64 v[165:166], v[106:107], -v[10:11]
	v_add_f64 v[171:172], v[104:105], -v[8:9]
	v_add_f64 v[141:142], v[110:111], v[26:27]
	v_add_f64 v[149:150], v[102:103], v[14:15]
	v_add_f64 v[143:144], v[108:109], -v[24:25]
	v_add_f64 v[155:156], v[100:101], -v[12:13]
	;; [unrolled: 1-line block ×3, first 2 shown]
	v_add_f64 v[147:148], v[100:101], v[12:13]
	v_mul_f64 v[153:154], v[137:138], s[20:21]
	v_mul_f64 v[126:127], v[151:152], s[26:27]
	;; [unrolled: 1-line block ×6, first 2 shown]
	v_fma_f64 v[177:178], v[139:140], s[16:17], v[153:154]
	v_fma_f64 v[181:182], v[139:140], s[16:17], -v[153:154]
	v_add_f64 v[153:154], v[104:105], v[8:9]
	s_clause 0x3
	buffer_load_dword v8, off, s[60:63], 0 offset:64
	buffer_load_dword v9, off, s[60:63], 0 offset:68
	;; [unrolled: 1-line block ×4, first 2 shown]
	v_fma_f64 v[210:211], v[171:172], s[56:57], v[126:127]
	v_fma_f64 v[179:180], v[143:144], s[34:35], v[157:158]
	;; [unrolled: 1-line block ×6, first 2 shown]
	v_fma_f64 v[169:170], v[147:148], s[22:23], -v[169:170]
	v_fma_f64 v[126:127], v[171:172], s[28:29], v[126:127]
	v_add_f64 v[204:205], v[177:178], v[159:160]
	v_add_f64 v[120:121], v[181:182], v[120:121]
	v_fma_f64 v[208:209], v[153:154], s[26:27], v[124:125]
	v_fma_f64 v[124:125], v[153:154], s[26:27], -v[124:125]
	v_add_f64 v[161:162], v[179:180], v[161:162]
	v_add_f64 v[122:123], v[183:184], v[122:123]
	v_add_f64 v[179:180], v[90:91], -v[82:83]
	v_add_f64 v[204:205], v[167:168], v[204:205]
	v_add_f64 v[120:121], v[169:170], v[120:121]
	;; [unrolled: 1-line block ×8, first 2 shown]
	v_mul_f64 v[124:125], v[179:180], s[58:59]
	v_add_f64 v[200:201], v[210:211], v[200:201]
	v_add_f64 v[122:123], v[126:127], v[122:123]
	v_mul_f64 v[126:127], v[161:162], s[50:51]
	s_waitcnt vmcnt(0)
	v_add_f64 v[157:158], v[98:99], v[10:11]
	v_add_f64 v[173:174], v[98:99], -v[10:11]
	v_add_f64 v[159:160], v[96:97], v[8:9]
	v_add_f64 v[175:176], v[96:97], -v[8:9]
	s_clause 0x3
	buffer_load_dword v8, off, s[60:63], 0 offset:32
	buffer_load_dword v9, off, s[60:63], 0 offset:36
	;; [unrolled: 1-line block ×4, first 2 shown]
	s_waitcnt vmcnt(0)
	s_waitcnt_vscnt null, 0x0
	s_barrier
	buffer_gl0_inv
	v_mul_f64 v[206:207], v[157:158], s[30:31]
	v_mul_f64 v[183:184], v[173:174], s[38:39]
	v_fma_f64 v[216:217], v[175:176], s[48:49], v[206:207]
	v_fma_f64 v[214:215], v[159:160], s[30:31], v[183:184]
	v_fma_f64 v[218:219], v[159:160], s[30:31], -v[183:184]
	v_fma_f64 v[206:207], v[175:176], s[38:39], v[206:207]
	v_add_f64 v[183:184], v[88:89], -v[80:81]
	v_add_f64 v[200:201], v[216:217], v[200:201]
	v_add_f64 v[204:205], v[214:215], v[204:205]
	v_add_f64 v[120:121], v[218:219], v[120:121]
	v_add_f64 v[122:123], v[206:207], v[122:123]
	v_fma_f64 v[206:207], v[169:170], s[50:51], v[124:125]
	v_fma_f64 v[214:215], v[183:184], s[54:55], v[126:127]
	v_fma_f64 v[124:125], v[169:170], s[50:51], -v[124:125]
	v_fma_f64 v[126:127], v[183:184], s[58:59], v[126:127]
	v_add_f64 v[163:164], v[94:95], v[10:11]
	v_add_f64 v[177:178], v[94:95], -v[10:11]
	v_add_f64 v[167:168], v[92:93], v[8:9]
	v_add_f64 v[181:182], v[92:93], -v[8:9]
	v_mul_f64 v[212:213], v[163:164], s[44:45]
	v_mul_f64 v[202:203], v[177:178], s[46:47]
	v_fma_f64 v[210:211], v[181:182], s[52:53], v[212:213]
	v_fma_f64 v[208:209], v[167:168], s[44:45], v[202:203]
	v_fma_f64 v[202:203], v[167:168], s[44:45], -v[202:203]
	v_fma_f64 v[212:213], v[181:182], s[46:47], v[212:213]
	v_add_f64 v[200:201], v[210:211], v[200:201]
	v_add_f64 v[204:205], v[208:209], v[204:205]
	;; [unrolled: 1-line block ×8, first 2 shown]
	s_and_saveexec_b32 s1, vcc_lo
	s_cbranch_execz .LBB0_17
; %bb.16:
	s_clause 0x7
	buffer_load_dword v24, off, s[60:63], 0 offset:32
	buffer_load_dword v25, off, s[60:63], 0 offset:36
	;; [unrolled: 1-line block ×8, first 2 shown]
	v_add_f64 v[118:119], v[86:87], v[118:119]
	v_add_f64 v[116:117], v[84:85], v[116:117]
	v_mul_f64 v[232:233], v[183:184], s[46:47]
	v_mul_f64 v[236:237], v[179:180], s[46:47]
	v_add_f64 v[114:115], v[118:119], v[114:115]
	v_add_f64 v[112:113], v[116:117], v[112:113]
	v_mul_f64 v[116:117], v[187:188], s[46:47]
	v_mul_f64 v[118:119], v[187:188], s[54:55]
	;; [unrolled: 4-line block ×3, first 2 shown]
	v_fma_f64 v[204:205], v[185:186], s[44:45], -v[116:117]
	v_fma_f64 v[116:117], v[185:186], s[44:45], v[116:117]
	v_fma_f64 v[206:207], v[185:186], s[50:51], -v[118:119]
	v_fma_f64 v[118:119], v[185:186], s[50:51], v[118:119]
	v_add_f64 v[102:103], v[110:111], v[102:103]
	v_add_f64 v[100:101], v[108:109], v[100:101]
	v_fma_f64 v[200:201], v[185:186], s[16:17], -v[112:113]
	v_fma_f64 v[112:113], v[185:186], s[16:17], v[112:113]
	v_fma_f64 v[202:203], v[185:186], s[26:27], -v[114:115]
	v_fma_f64 v[114:115], v[185:186], s[26:27], v[114:115]
	v_add_f64 v[116:117], v[84:85], v[116:117]
	v_add_f64 v[118:119], v[84:85], v[118:119]
	v_add_f64 v[102:103], v[102:103], v[106:107]
	v_add_f64 v[100:101], v[100:101], v[104:105]
	v_add_f64 v[112:113], v[84:85], v[112:113]
	v_add_f64 v[114:115], v[84:85], v[114:115]
	v_add_f64 v[98:99], v[102:103], v[98:99]
	v_add_f64 v[96:97], v[100:101], v[96:97]
	v_mul_f64 v[100:101], v[191:192], s[40:41]
	v_add_f64 v[94:95], v[98:99], v[94:95]
	v_add_f64 v[92:93], v[96:97], v[92:93]
	v_mul_f64 v[96:97], v[191:192], s[48:49]
	v_mul_f64 v[98:99], v[191:192], s[36:37]
	v_fma_f64 v[110:111], v[189:190], s[8:9], v[100:101]
	v_fma_f64 v[100:101], v[189:190], s[8:9], -v[100:101]
	v_add_f64 v[90:91], v[94:95], v[90:91]
	v_add_f64 v[88:89], v[92:93], v[88:89]
	v_mul_f64 v[92:93], v[191:192], s[20:21]
	v_mul_f64 v[94:95], v[191:192], s[54:55]
	v_fma_f64 v[106:107], v[189:190], s[30:31], v[96:97]
	v_fma_f64 v[96:97], v[189:190], s[30:31], -v[96:97]
	v_fma_f64 v[108:109], v[189:190], s[22:23], v[98:99]
	v_fma_f64 v[98:99], v[189:190], s[22:23], -v[98:99]
	v_add_f64 v[110:111], v[86:87], v[110:111]
	v_add_f64 v[82:83], v[90:91], v[82:83]
	;; [unrolled: 1-line block ×3, first 2 shown]
	v_mul_f64 v[88:89], v[191:192], s[28:29]
	v_mul_f64 v[90:91], v[191:192], s[46:47]
	v_fma_f64 v[102:103], v[189:190], s[16:17], v[92:93]
	v_fma_f64 v[92:93], v[189:190], s[16:17], -v[92:93]
	v_fma_f64 v[104:105], v[189:190], s[50:51], v[94:95]
	v_fma_f64 v[94:95], v[189:190], s[50:51], -v[94:95]
	v_add_f64 v[106:107], v[86:87], v[106:107]
	v_add_f64 v[96:97], v[86:87], v[96:97]
	;; [unrolled: 1-line block ×4, first 2 shown]
	v_mul_f64 v[191:192], v[187:188], s[36:37]
	v_add_f64 v[102:103], v[86:87], v[102:103]
	v_add_f64 v[92:93], v[86:87], v[92:93]
	;; [unrolled: 1-line block ×4, first 2 shown]
	v_fma_f64 v[210:211], v[185:186], s[22:23], -v[191:192]
	v_fma_f64 v[191:192], v[185:186], s[22:23], v[191:192]
	v_add_f64 v[191:192], v[84:85], v[191:192]
	s_waitcnt vmcnt(4)
	v_add_f64 v[26:27], v[82:83], v[26:27]
	v_add_f64 v[24:25], v[80:81], v[24:25]
	v_fma_f64 v[80:81], v[189:190], s[26:27], v[88:89]
	v_fma_f64 v[82:83], v[189:190], s[26:27], -v[88:89]
	v_fma_f64 v[88:89], v[189:190], s[44:45], v[90:91]
	v_fma_f64 v[90:91], v[189:190], s[44:45], -v[90:91]
	v_mul_f64 v[189:190], v[187:188], s[48:49]
	v_mul_f64 v[187:188], v[187:188], s[40:41]
	s_waitcnt vmcnt(0)
	v_add_f64 v[26:27], v[26:27], v[10:11]
	v_add_f64 v[24:25], v[24:25], v[8:9]
	s_clause 0x3
	buffer_load_dword v8, off, s[60:63], 0 offset:48
	buffer_load_dword v9, off, s[60:63], 0 offset:52
	;; [unrolled: 1-line block ×4, first 2 shown]
	v_add_f64 v[80:81], v[86:87], v[80:81]
	v_add_f64 v[82:83], v[86:87], v[82:83]
	;; [unrolled: 1-line block ×5, first 2 shown]
	v_mul_f64 v[100:101], v[135:136], s[38:39]
	v_fma_f64 v[208:209], v[185:186], s[30:31], -v[189:190]
	v_fma_f64 v[189:190], v[185:186], s[30:31], v[189:190]
	v_fma_f64 v[212:213], v[185:186], s[8:9], -v[187:188]
	v_fma_f64 v[185:186], v[185:186], s[8:9], v[187:188]
	v_add_f64 v[187:188], v[84:85], v[200:201]
	v_add_f64 v[200:201], v[84:85], v[202:203]
	;; [unrolled: 1-line block ×4, first 2 shown]
	v_fma_f64 v[20:21], v[133:134], s[30:31], v[100:101]
	v_add_f64 v[206:207], v[84:85], v[208:209]
	v_add_f64 v[189:190], v[84:85], v[189:190]
	;; [unrolled: 1-line block ×5, first 2 shown]
	v_mul_f64 v[185:186], v[143:144], s[54:55]
	v_fma_f64 v[16:17], v[133:134], s[30:31], -v[100:101]
	v_fma_f64 v[100:101], v[169:170], s[44:45], v[236:237]
	v_add_f64 v[20:21], v[20:21], v[102:103]
	v_mul_f64 v[102:103], v[131:132], s[38:39]
	v_add_f64 v[16:17], v[16:17], v[92:93]
	v_fma_f64 v[92:93], v[141:142], s[50:51], -v[185:186]
	v_fma_f64 v[22:23], v[129:130], s[30:31], -v[102:103]
	v_fma_f64 v[18:19], v[129:130], s[30:31], v[102:103]
	v_add_f64 v[16:17], v[92:93], v[16:17]
	v_add_f64 v[22:23], v[22:23], v[187:188]
	v_fma_f64 v[187:188], v[141:142], s[50:51], v[185:186]
	v_add_f64 v[18:19], v[18:19], v[112:113]
	v_add_f64 v[20:21], v[187:188], v[20:21]
	v_mul_f64 v[187:188], v[137:138], s[54:55]
	v_fma_f64 v[212:213], v[139:140], s[50:51], -v[187:188]
	v_fma_f64 v[92:93], v[139:140], s[50:51], v[187:188]
	v_add_f64 v[22:23], v[212:213], v[22:23]
	v_mul_f64 v[212:213], v[155:156], s[56:57]
	v_add_f64 v[18:19], v[92:93], v[18:19]
	v_fma_f64 v[214:215], v[149:150], s[26:27], v[212:213]
	v_fma_f64 v[92:93], v[149:150], s[26:27], -v[212:213]
	v_add_f64 v[20:21], v[214:215], v[20:21]
	v_mul_f64 v[214:215], v[145:146], s[56:57]
	v_add_f64 v[16:17], v[92:93], v[16:17]
	v_fma_f64 v[216:217], v[147:148], s[26:27], -v[214:215]
	v_fma_f64 v[92:93], v[147:148], s[26:27], v[214:215]
	v_add_f64 v[22:23], v[216:217], v[22:23]
	v_mul_f64 v[216:217], v[171:172], s[40:41]
	v_add_f64 v[18:19], v[92:93], v[18:19]
	v_fma_f64 v[218:219], v[151:152], s[8:9], v[216:217]
	v_fma_f64 v[92:93], v[151:152], s[8:9], -v[216:217]
	v_add_f64 v[20:21], v[218:219], v[20:21]
	v_mul_f64 v[218:219], v[165:166], s[40:41]
	v_add_f64 v[16:17], v[92:93], v[16:17]
	s_waitcnt vmcnt(0)
	v_add_f64 v[26:27], v[26:27], v[10:11]
	v_add_f64 v[24:25], v[24:25], v[8:9]
	s_clause 0x3
	buffer_load_dword v8, off, s[60:63], 0 offset:16
	buffer_load_dword v9, off, s[60:63], 0 offset:20
	;; [unrolled: 1-line block ×4, first 2 shown]
	v_fma_f64 v[220:221], v[153:154], s[8:9], -v[218:219]
	v_fma_f64 v[92:93], v[153:154], s[8:9], v[218:219]
	v_add_f64 v[22:23], v[220:221], v[22:23]
	v_mul_f64 v[220:221], v[175:176], s[10:11]
	v_add_f64 v[18:19], v[92:93], v[18:19]
	v_fma_f64 v[222:223], v[157:158], s[2:3], v[220:221]
	v_fma_f64 v[92:93], v[157:158], s[2:3], -v[220:221]
	v_add_f64 v[20:21], v[222:223], v[20:21]
	v_mul_f64 v[222:223], v[173:174], s[10:11]
	v_add_f64 v[16:17], v[92:93], v[16:17]
	v_fma_f64 v[224:225], v[159:160], s[2:3], -v[222:223]
	v_fma_f64 v[92:93], v[159:160], s[2:3], v[222:223]
	v_mul_f64 v[222:223], v[183:184], s[38:39]
	v_add_f64 v[22:23], v[224:225], v[22:23]
	v_mul_f64 v[224:225], v[181:182], s[24:25]
	v_add_f64 v[18:19], v[92:93], v[18:19]
	v_fma_f64 v[226:227], v[163:164], s[22:23], v[224:225]
	v_fma_f64 v[92:93], v[163:164], s[22:23], -v[224:225]
	v_mul_f64 v[224:225], v[179:180], s[38:39]
	v_add_f64 v[20:21], v[226:227], v[20:21]
	v_mul_f64 v[226:227], v[177:178], s[24:25]
	v_add_f64 v[16:17], v[92:93], v[16:17]
	v_fma_f64 v[92:93], v[167:168], s[22:23], v[226:227]
	v_fma_f64 v[228:229], v[167:168], s[22:23], -v[226:227]
	v_add_f64 v[92:93], v[92:93], v[18:19]
	v_fma_f64 v[18:19], v[161:162], s[44:45], -v[232:233]
	v_add_f64 v[228:229], v[228:229], v[22:23]
	v_fma_f64 v[22:23], v[161:162], s[44:45], v[232:233]
	v_add_f64 v[18:19], v[18:19], v[16:17]
	v_add_f64 v[16:17], v[100:101], v[92:93]
	v_mul_f64 v[92:93], v[135:136], s[52:53]
	v_mul_f64 v[100:101], v[143:144], s[40:41]
	v_add_f64 v[22:23], v[22:23], v[20:21]
	v_fma_f64 v[20:21], v[169:170], s[44:45], -v[236:237]
	v_fma_f64 v[12:13], v[133:134], s[44:45], v[92:93]
	v_fma_f64 v[102:103], v[141:142], s[8:9], v[100:101]
	v_add_f64 v[20:21], v[20:21], v[228:229]
	v_add_f64 v[12:13], v[12:13], v[80:81]
	v_mul_f64 v[80:81], v[131:132], s[52:53]
	v_add_f64 v[12:13], v[102:103], v[12:13]
	v_fma_f64 v[14:15], v[129:130], s[44:45], -v[80:81]
	v_mul_f64 v[102:103], v[137:138], s[40:41]
	v_add_f64 v[14:15], v[14:15], v[200:201]
	v_fma_f64 v[112:113], v[139:140], s[8:9], -v[102:103]
	s_waitcnt vmcnt(0)
	v_add_f64 v[26:27], v[26:27], v[10:11]
	v_add_f64 v[24:25], v[24:25], v[8:9]
	s_clause 0x3
	buffer_load_dword v8, off, s[60:63], 0
	buffer_load_dword v9, off, s[60:63], 0 offset:4
	buffer_load_dword v10, off, s[60:63], 0 offset:8
	buffer_load_dword v11, off, s[60:63], 0 offset:12
	v_add_f64 v[14:15], v[112:113], v[14:15]
	v_mul_f64 v[112:113], v[155:156], s[20:21]
	v_fma_f64 v[185:186], v[149:150], s[16:17], v[112:113]
	v_add_f64 v[12:13], v[185:186], v[12:13]
	v_mul_f64 v[185:186], v[145:146], s[20:21]
	v_fma_f64 v[187:188], v[147:148], s[16:17], -v[185:186]
	v_add_f64 v[14:15], v[187:188], v[14:15]
	v_mul_f64 v[187:188], v[171:172], s[58:59]
	v_fma_f64 v[200:201], v[151:152], s[50:51], v[187:188]
	v_add_f64 v[12:13], v[200:201], v[12:13]
	v_mul_f64 v[200:201], v[165:166], s[58:59]
	v_fma_f64 v[212:213], v[153:154], s[50:51], -v[200:201]
	;; [unrolled: 6-line block ×3, first 2 shown]
	v_add_f64 v[14:15], v[216:217], v[14:15]
	v_mul_f64 v[216:217], v[181:182], s[10:11]
	v_fma_f64 v[218:219], v[163:164], s[2:3], v[216:217]
	s_waitcnt vmcnt(2)
	v_add_f64 v[24:25], v[24:25], v[8:9]
	v_fma_f64 v[8:9], v[133:134], s[44:45], -v[92:93]
	s_waitcnt vmcnt(0)
	v_add_f64 v[26:27], v[26:27], v[10:11]
	v_fma_f64 v[10:11], v[129:130], s[44:45], v[80:81]
	v_fma_f64 v[80:81], v[141:142], s[8:9], -v[100:101]
	v_mul_f64 v[92:93], v[143:144], s[24:25]
	v_add_f64 v[12:13], v[218:219], v[12:13]
	v_mul_f64 v[218:219], v[177:178], s[10:11]
	v_add_f64 v[24:25], v[24:25], v[4:5]
	v_add_f64 v[8:9], v[8:9], v[82:83]
	v_mul_f64 v[4:5], v[135:136], s[34:35]
	v_add_f64 v[10:11], v[10:11], v[114:115]
	v_fma_f64 v[82:83], v[169:170], s[30:31], v[224:225]
	v_add_f64 v[6:7], v[26:27], v[6:7]
	v_fma_f64 v[100:101], v[141:142], s[22:23], v[92:93]
	v_fma_f64 v[92:93], v[141:142], s[22:23], -v[92:93]
	v_fma_f64 v[220:221], v[167:168], s[2:3], -v[218:219]
	v_add_f64 v[8:9], v[80:81], v[8:9]
	v_fma_f64 v[80:81], v[139:140], s[8:9], v[102:103]
	v_fma_f64 v[26:27], v[133:134], s[16:17], v[4:5]
	v_fma_f64 v[4:5], v[133:134], s[16:17], -v[4:5]
	v_add_f64 v[220:221], v[220:221], v[14:15]
	v_fma_f64 v[14:15], v[161:162], s[30:31], v[222:223]
	v_add_f64 v[10:11], v[80:81], v[10:11]
	v_fma_f64 v[80:81], v[149:150], s[16:17], -v[112:113]
	v_add_f64 v[26:27], v[26:27], v[88:89]
	v_add_f64 v[4:5], v[4:5], v[90:91]
	v_mul_f64 v[88:89], v[135:136], s[10:11]
	v_add_f64 v[14:15], v[14:15], v[12:13]
	v_fma_f64 v[12:13], v[169:170], s[30:31], -v[224:225]
	v_add_f64 v[8:9], v[80:81], v[8:9]
	v_fma_f64 v[80:81], v[147:148], s[16:17], v[185:186]
	v_add_f64 v[26:27], v[100:101], v[26:27]
	v_mul_f64 v[100:101], v[137:138], s[24:25]
	v_add_f64 v[4:5], v[92:93], v[4:5]
	v_fma_f64 v[90:91], v[133:134], s[2:3], v[88:89]
	v_fma_f64 v[88:89], v[133:134], s[2:3], -v[88:89]
	v_mul_f64 v[185:186], v[137:138], s[52:53]
	v_add_f64 v[12:13], v[12:13], v[220:221]
	v_add_f64 v[10:11], v[80:81], v[10:11]
	v_fma_f64 v[80:81], v[151:152], s[50:51], -v[187:188]
	v_fma_f64 v[92:93], v[139:140], s[22:23], v[100:101]
	v_fma_f64 v[102:103], v[139:140], s[22:23], -v[100:101]
	v_add_f64 v[90:91], v[90:91], v[104:105]
	v_add_f64 v[88:89], v[88:89], v[94:95]
	v_fma_f64 v[187:188], v[139:140], s[44:45], -v[185:186]
	v_add_f64 v[8:9], v[80:81], v[8:9]
	v_fma_f64 v[80:81], v[153:154], s[50:51], v[200:201]
	v_add_f64 v[10:11], v[80:81], v[10:11]
	v_fma_f64 v[80:81], v[157:158], s[22:23], -v[212:213]
	v_add_f64 v[8:9], v[80:81], v[8:9]
	v_fma_f64 v[80:81], v[159:160], s[22:23], v[214:215]
	;; [unrolled: 4-line block ×3, first 2 shown]
	v_add_f64 v[80:81], v[80:81], v[10:11]
	v_fma_f64 v[10:11], v[161:162], s[30:31], -v[222:223]
	v_add_f64 v[10:11], v[10:11], v[8:9]
	v_add_f64 v[8:9], v[82:83], v[80:81]
	v_mul_f64 v[80:81], v[131:132], s[34:35]
	v_fma_f64 v[82:83], v[129:130], s[16:17], -v[80:81]
	v_fma_f64 v[80:81], v[129:130], s[16:17], v[80:81]
	v_add_f64 v[82:83], v[82:83], v[202:203]
	v_add_f64 v[80:81], v[80:81], v[116:117]
	;; [unrolled: 1-line block ×4, first 2 shown]
	v_mul_f64 v[92:93], v[143:144], s[52:53]
	v_fma_f64 v[100:101], v[141:142], s[44:45], v[92:93]
	v_fma_f64 v[92:93], v[141:142], s[44:45], -v[92:93]
	v_add_f64 v[90:91], v[100:101], v[90:91]
	v_mul_f64 v[100:101], v[155:156], s[48:49]
	v_add_f64 v[88:89], v[92:93], v[88:89]
	v_fma_f64 v[102:103], v[149:150], s[30:31], v[100:101]
	v_fma_f64 v[100:101], v[149:150], s[30:31], -v[100:101]
	v_add_f64 v[26:27], v[102:103], v[26:27]
	v_mul_f64 v[102:103], v[145:146], s[48:49]
	v_add_f64 v[4:5], v[100:101], v[4:5]
	v_fma_f64 v[100:101], v[147:148], s[30:31], v[102:103]
	v_fma_f64 v[104:105], v[147:148], s[30:31], -v[102:103]
	v_add_f64 v[80:81], v[100:101], v[80:81]
	v_mul_f64 v[100:101], v[155:156], s[18:19]
	v_add_f64 v[82:83], v[104:105], v[82:83]
	v_fma_f64 v[102:103], v[149:150], s[8:9], v[100:101]
	v_fma_f64 v[92:93], v[149:150], s[8:9], -v[100:101]
	v_add_f64 v[90:91], v[102:103], v[90:91]
	v_mul_f64 v[102:103], v[171:172], s[10:11]
	v_add_f64 v[88:89], v[92:93], v[88:89]
	v_fma_f64 v[104:105], v[151:152], s[2:3], v[102:103]
	v_fma_f64 v[102:103], v[151:152], s[2:3], -v[102:103]
	v_add_f64 v[26:27], v[104:105], v[26:27]
	v_mul_f64 v[104:105], v[165:166], s[10:11]
	v_add_f64 v[4:5], v[102:103], v[4:5]
	v_fma_f64 v[102:103], v[153:154], s[2:3], v[104:105]
	v_fma_f64 v[112:113], v[153:154], s[2:3], -v[104:105]
	v_add_f64 v[80:81], v[102:103], v[80:81]
	v_mul_f64 v[102:103], v[175:176], s[58:59]
	v_add_f64 v[82:83], v[112:113], v[82:83]
	v_fma_f64 v[104:105], v[157:158], s[50:51], v[102:103]
	v_fma_f64 v[102:103], v[157:158], s[50:51], -v[102:103]
	v_add_f64 v[26:27], v[104:105], v[26:27]
	v_mul_f64 v[104:105], v[173:174], s[58:59]
	v_add_f64 v[4:5], v[102:103], v[4:5]
	v_fma_f64 v[102:103], v[159:160], s[50:51], v[104:105]
	v_fma_f64 v[112:113], v[159:160], s[50:51], -v[104:105]
	v_add_f64 v[80:81], v[102:103], v[80:81]
	v_mul_f64 v[102:103], v[181:182], s[40:41]
	v_add_f64 v[82:83], v[112:113], v[82:83]
	v_fma_f64 v[104:105], v[163:164], s[8:9], v[102:103]
	v_add_f64 v[104:105], v[104:105], v[26:27]
	v_mul_f64 v[26:27], v[177:178], s[40:41]
	v_fma_f64 v[112:113], v[167:168], s[8:9], -v[26:27]
	v_fma_f64 v[26:27], v[167:168], s[8:9], v[26:27]
	v_add_f64 v[112:113], v[112:113], v[82:83]
	v_fma_f64 v[82:83], v[163:164], s[8:9], -v[102:103]
	v_add_f64 v[102:103], v[26:27], v[80:81]
	v_mul_f64 v[26:27], v[171:172], s[48:49]
	v_add_f64 v[4:5], v[82:83], v[4:5]
	v_mul_f64 v[82:83], v[175:176], s[20:21]
	v_fma_f64 v[80:81], v[151:152], s[30:31], v[26:27]
	v_fma_f64 v[26:27], v[151:152], s[30:31], -v[26:27]
	v_add_f64 v[80:81], v[80:81], v[90:91]
	v_fma_f64 v[90:91], v[157:158], s[16:17], v[82:83]
	v_add_f64 v[26:27], v[26:27], v[88:89]
	v_fma_f64 v[82:83], v[157:158], s[16:17], -v[82:83]
	v_mul_f64 v[88:89], v[143:144], s[42:43]
	v_add_f64 v[80:81], v[90:91], v[80:81]
	v_mul_f64 v[90:91], v[181:182], s[56:57]
	v_add_f64 v[26:27], v[82:83], v[26:27]
	v_fma_f64 v[114:115], v[163:164], s[26:27], v[90:91]
	v_fma_f64 v[82:83], v[163:164], s[26:27], -v[90:91]
	v_fma_f64 v[90:91], v[141:142], s[2:3], v[88:89]
	v_fma_f64 v[88:89], v[141:142], s[2:3], -v[88:89]
	v_add_f64 v[114:115], v[114:115], v[80:81]
	v_mul_f64 v[80:81], v[131:132], s[10:11]
	v_add_f64 v[26:27], v[82:83], v[26:27]
	v_fma_f64 v[82:83], v[139:140], s[44:45], v[185:186]
	v_fma_f64 v[116:117], v[129:130], s[2:3], -v[80:81]
	v_fma_f64 v[80:81], v[129:130], s[2:3], v[80:81]
	v_add_f64 v[116:117], v[116:117], v[204:205]
	v_add_f64 v[80:81], v[80:81], v[118:119]
	v_add_f64 v[116:117], v[187:188], v[116:117]
	v_mul_f64 v[187:188], v[145:146], s[18:19]
	v_add_f64 v[80:81], v[82:83], v[80:81]
	v_fma_f64 v[200:201], v[147:148], s[8:9], -v[187:188]
	v_fma_f64 v[82:83], v[147:148], s[8:9], v[187:188]
	v_mul_f64 v[187:188], v[137:138], s[42:43]
	v_add_f64 v[116:117], v[200:201], v[116:117]
	v_mul_f64 v[200:201], v[165:166], s[48:49]
	v_add_f64 v[80:81], v[82:83], v[80:81]
	v_fma_f64 v[202:203], v[153:154], s[30:31], -v[200:201]
	v_fma_f64 v[82:83], v[153:154], s[30:31], v[200:201]
	v_fma_f64 v[200:201], v[139:140], s[2:3], -v[187:188]
	v_add_f64 v[116:117], v[202:203], v[116:117]
	v_mul_f64 v[202:203], v[173:174], s[20:21]
	v_add_f64 v[80:81], v[82:83], v[80:81]
	v_fma_f64 v[204:205], v[159:160], s[16:17], -v[202:203]
	v_fma_f64 v[82:83], v[159:160], s[16:17], v[202:203]
	v_add_f64 v[116:117], v[204:205], v[116:117]
	v_mul_f64 v[204:205], v[177:178], s[56:57]
	v_add_f64 v[80:81], v[82:83], v[80:81]
	v_fma_f64 v[82:83], v[167:168], s[26:27], v[204:205]
	v_fma_f64 v[212:213], v[167:168], s[26:27], -v[204:205]
	v_add_f64 v[100:101], v[82:83], v[80:81]
	v_mul_f64 v[80:81], v[135:136], s[28:29]
	v_add_f64 v[116:117], v[212:213], v[116:117]
	v_fma_f64 v[82:83], v[133:134], s[26:27], v[80:81]
	v_fma_f64 v[80:81], v[133:134], s[26:27], -v[80:81]
	v_add_f64 v[82:83], v[82:83], v[106:107]
	v_add_f64 v[80:81], v[80:81], v[96:97]
	;; [unrolled: 1-line block ×3, first 2 shown]
	v_mul_f64 v[90:91], v[155:156], s[52:53]
	v_add_f64 v[80:81], v[88:89], v[80:81]
	v_fma_f64 v[92:93], v[149:150], s[44:45], v[90:91]
	v_fma_f64 v[88:89], v[149:150], s[44:45], -v[90:91]
	v_add_f64 v[82:83], v[92:93], v[82:83]
	v_mul_f64 v[92:93], v[171:172], s[24:25]
	v_add_f64 v[80:81], v[88:89], v[80:81]
	v_fma_f64 v[94:95], v[151:152], s[22:23], v[92:93]
	v_fma_f64 v[88:89], v[151:152], s[22:23], -v[92:93]
	v_mul_f64 v[92:93], v[143:144], s[28:29]
	v_add_f64 v[82:83], v[94:95], v[82:83]
	v_mul_f64 v[94:95], v[175:176], s[40:41]
	v_add_f64 v[80:81], v[88:89], v[80:81]
	v_fma_f64 v[106:107], v[157:158], s[8:9], v[94:95]
	v_fma_f64 v[88:89], v[157:158], s[8:9], -v[94:95]
	v_fma_f64 v[94:95], v[141:142], s[26:27], v[92:93]
	v_fma_f64 v[92:93], v[141:142], s[26:27], -v[92:93]
	v_add_f64 v[82:83], v[106:107], v[82:83]
	v_mul_f64 v[106:107], v[181:182], s[54:55]
	v_add_f64 v[80:81], v[88:89], v[80:81]
	v_fma_f64 v[118:119], v[163:164], s[50:51], v[106:107]
	v_fma_f64 v[88:89], v[163:164], s[50:51], -v[106:107]
	v_add_f64 v[118:119], v[118:119], v[82:83]
	v_mul_f64 v[82:83], v[131:132], s[28:29]
	v_add_f64 v[80:81], v[88:89], v[80:81]
	v_fma_f64 v[88:89], v[139:140], s[2:3], v[187:188]
	v_mul_f64 v[187:188], v[137:138], s[28:29]
	v_fma_f64 v[185:186], v[129:130], s[26:27], -v[82:83]
	v_fma_f64 v[82:83], v[129:130], s[26:27], v[82:83]
	v_add_f64 v[185:186], v[185:186], v[206:207]
	v_add_f64 v[82:83], v[82:83], v[189:190]
	v_fma_f64 v[189:190], v[139:140], s[26:27], -v[187:188]
	v_add_f64 v[185:186], v[200:201], v[185:186]
	v_mul_f64 v[200:201], v[145:146], s[52:53]
	v_add_f64 v[82:83], v[88:89], v[82:83]
	v_fma_f64 v[202:203], v[147:148], s[44:45], -v[200:201]
	v_fma_f64 v[88:89], v[147:148], s[44:45], v[200:201]
	v_add_f64 v[185:186], v[202:203], v[185:186]
	v_mul_f64 v[202:203], v[165:166], s[24:25]
	v_add_f64 v[82:83], v[88:89], v[82:83]
	v_fma_f64 v[204:205], v[153:154], s[22:23], -v[202:203]
	v_fma_f64 v[88:89], v[153:154], s[22:23], v[202:203]
	v_add_f64 v[185:186], v[204:205], v[185:186]
	v_mul_f64 v[204:205], v[173:174], s[40:41]
	v_add_f64 v[82:83], v[88:89], v[82:83]
	v_fma_f64 v[88:89], v[159:160], s[8:9], v[204:205]
	v_fma_f64 v[206:207], v[159:160], s[8:9], -v[204:205]
	v_add_f64 v[82:83], v[88:89], v[82:83]
	v_mul_f64 v[88:89], v[135:136], s[54:55]
	v_add_f64 v[185:186], v[206:207], v[185:186]
	v_mul_f64 v[206:207], v[177:178], s[54:55]
	v_fma_f64 v[90:91], v[133:134], s[50:51], v[88:89]
	v_fma_f64 v[88:89], v[133:134], s[50:51], -v[88:89]
	v_fma_f64 v[212:213], v[167:168], s[50:51], -v[206:207]
	v_add_f64 v[90:91], v[90:91], v[108:109]
	v_add_f64 v[88:89], v[88:89], v[98:99]
	v_mul_f64 v[98:99], v[143:144], s[48:49]
	v_add_f64 v[185:186], v[212:213], v[185:186]
	v_add_f64 v[90:91], v[94:95], v[90:91]
	v_mul_f64 v[94:95], v[155:156], s[10:11]
	v_add_f64 v[88:89], v[92:93], v[88:89]
	v_fma_f64 v[96:97], v[149:150], s[2:3], v[94:95]
	v_fma_f64 v[92:93], v[149:150], s[2:3], -v[94:95]
	v_fma_f64 v[94:95], v[139:140], s[26:27], v[187:188]
	v_add_f64 v[90:91], v[96:97], v[90:91]
	v_mul_f64 v[96:97], v[171:172], s[34:35]
	v_add_f64 v[88:89], v[92:93], v[88:89]
	v_fma_f64 v[106:107], v[151:152], s[16:17], v[96:97]
	v_fma_f64 v[92:93], v[151:152], s[16:17], -v[96:97]
	v_add_f64 v[90:91], v[106:107], v[90:91]
	v_mul_f64 v[106:107], v[131:132], s[54:55]
	v_add_f64 v[88:89], v[92:93], v[88:89]
	v_fma_f64 v[108:109], v[129:130], s[50:51], -v[106:107]
	v_fma_f64 v[92:93], v[129:130], s[50:51], v[106:107]
	v_fma_f64 v[106:107], v[141:142], s[30:31], v[98:99]
	v_fma_f64 v[98:99], v[141:142], s[30:31], -v[98:99]
	v_add_f64 v[108:109], v[108:109], v[208:209]
	v_add_f64 v[92:93], v[92:93], v[191:192]
	;; [unrolled: 1-line block ×3, first 2 shown]
	v_mul_f64 v[189:190], v[145:146], s[10:11]
	v_add_f64 v[92:93], v[94:95], v[92:93]
	v_fma_f64 v[94:95], v[147:148], s[2:3], v[189:190]
	v_fma_f64 v[200:201], v[147:148], s[2:3], -v[189:190]
	v_add_f64 v[92:93], v[94:95], v[92:93]
	v_mul_f64 v[94:95], v[135:136], s[36:37]
	v_add_f64 v[108:109], v[200:201], v[108:109]
	v_mul_f64 v[200:201], v[165:166], s[34:35]
	v_fma_f64 v[96:97], v[133:134], s[22:23], v[94:95]
	v_fma_f64 v[94:95], v[133:134], s[22:23], -v[94:95]
	v_fma_f64 v[202:203], v[153:154], s[16:17], -v[200:201]
	v_mul_f64 v[133:134], v[175:176], s[52:53]
	v_fma_f64 v[141:142], v[153:154], s[16:17], v[200:201]
	v_add_f64 v[96:97], v[96:97], v[110:111]
	v_add_f64 v[86:87], v[94:95], v[86:87]
	v_mul_f64 v[94:95], v[131:132], s[36:37]
	v_mul_f64 v[110:111], v[155:156], s[54:55]
	v_add_f64 v[108:109], v[202:203], v[108:109]
	v_add_f64 v[92:93], v[141:142], v[92:93]
	v_mul_f64 v[141:142], v[177:178], s[38:39]
	v_mul_f64 v[155:156], v[183:184], s[10:11]
	v_add_f64 v[96:97], v[106:107], v[96:97]
	v_add_f64 v[86:87], v[98:99], v[86:87]
	v_fma_f64 v[106:107], v[129:130], s[22:23], -v[94:95]
	v_fma_f64 v[94:95], v[129:130], s[22:23], v[94:95]
	v_mul_f64 v[98:99], v[137:138], s[48:49]
	v_mul_f64 v[129:130], v[145:146], s[54:55]
	v_fma_f64 v[131:132], v[149:150], s[50:51], v[110:111]
	v_fma_f64 v[110:111], v[149:150], s[50:51], -v[110:111]
	v_mul_f64 v[137:138], v[165:166], s[46:47]
	v_mul_f64 v[145:146], v[173:174], s[28:29]
	v_fma_f64 v[149:150], v[167:168], s[50:51], v[206:207]
	v_mul_f64 v[165:166], v[179:180], s[20:21]
	v_add_f64 v[106:107], v[106:107], v[210:211]
	v_add_f64 v[84:85], v[94:95], v[84:85]
	v_fma_f64 v[94:95], v[139:140], s[30:31], v[98:99]
	v_fma_f64 v[98:99], v[139:140], s[30:31], -v[98:99]
	v_fma_f64 v[135:136], v[147:148], s[50:51], v[129:130]
	v_fma_f64 v[129:130], v[147:148], s[50:51], -v[129:130]
	v_mul_f64 v[139:140], v[173:174], s[52:53]
	v_add_f64 v[86:87], v[110:111], v[86:87]
	v_mul_f64 v[110:111], v[175:176], s[28:29]
	v_add_f64 v[96:97], v[131:132], v[96:97]
	;; [unrolled: 2-line block ×3, first 2 shown]
	v_add_f64 v[84:85], v[94:95], v[84:85]
	v_mul_f64 v[94:95], v[171:172], s[46:47]
	v_add_f64 v[98:99], v[98:99], v[106:107]
	v_fma_f64 v[106:107], v[157:158], s[44:45], v[133:134]
	v_fma_f64 v[131:132], v[159:160], s[44:45], -v[139:140]
	v_fma_f64 v[133:134], v[157:158], s[44:45], -v[133:134]
	v_fma_f64 v[139:140], v[159:160], s[44:45], v[139:140]
	v_mul_f64 v[171:172], v[179:180], s[24:25]
	v_add_f64 v[84:85], v[135:136], v[84:85]
	v_fma_f64 v[143:144], v[151:152], s[44:45], -v[94:95]
	v_fma_f64 v[135:136], v[153:154], s[44:45], v[137:138]
	v_fma_f64 v[94:95], v[151:152], s[44:45], v[94:95]
	v_fma_f64 v[137:138], v[153:154], s[44:45], -v[137:138]
	v_add_f64 v[98:99], v[129:130], v[98:99]
	v_mul_f64 v[129:130], v[181:182], s[20:21]
	v_fma_f64 v[151:152], v[157:158], s[26:27], -v[110:111]
	v_add_f64 v[90:91], v[106:107], v[90:91]
	v_add_f64 v[106:107], v[131:132], v[108:109]
	v_fma_f64 v[108:109], v[157:158], s[26:27], v[110:111]
	v_mul_f64 v[131:132], v[183:184], s[28:29]
	v_add_f64 v[88:89], v[133:134], v[88:89]
	v_fma_f64 v[110:111], v[167:168], s[30:31], -v[141:142]
	v_fma_f64 v[141:142], v[167:168], s[30:31], v[141:142]
	v_add_f64 v[92:93], v[139:140], v[92:93]
	v_mul_f64 v[139:140], v[183:184], s[20:21]
	v_mul_f64 v[153:154], v[183:184], s[24:25]
	;; [unrolled: 1-line block ×3, first 2 shown]
	v_fma_f64 v[173:174], v[169:170], s[22:23], v[171:172]
	v_fma_f64 v[171:172], v[169:170], s[22:23], -v[171:172]
	v_add_f64 v[86:87], v[143:144], v[86:87]
	v_mul_f64 v[143:144], v[177:178], s[20:21]
	v_add_f64 v[84:85], v[135:136], v[84:85]
	v_fma_f64 v[135:136], v[159:160], s[26:27], v[145:146]
	v_add_f64 v[94:95], v[94:95], v[96:97]
	v_fma_f64 v[96:97], v[163:164], s[30:31], v[147:148]
	v_fma_f64 v[145:146], v[159:160], s[26:27], -v[145:146]
	v_add_f64 v[98:99], v[137:138], v[98:99]
	v_fma_f64 v[147:148], v[163:164], s[30:31], -v[147:148]
	v_mul_f64 v[137:138], v[183:184], s[18:19]
	v_fma_f64 v[157:158], v[163:164], s[16:17], -v[129:130]
	v_mul_f64 v[159:160], v[179:180], s[18:19]
	v_add_f64 v[141:142], v[141:142], v[92:93]
	v_add_f64 v[92:93], v[24:25], v[0:1]
	v_and_b32_e32 v0, 0xffff, v231
	v_add_f64 v[24:25], v[173:174], v[100:101]
	v_add_f64 v[100:101], v[171:172], v[116:117]
	v_lshl_add_u32 v0, v0, 4, v242
	v_add_f64 v[86:87], v[151:152], v[86:87]
	v_fma_f64 v[151:152], v[167:168], s[16:17], v[143:144]
	v_add_f64 v[84:85], v[135:136], v[84:85]
	v_mul_f64 v[135:136], v[179:180], s[10:11]
	v_add_f64 v[82:83], v[108:109], v[94:95]
	v_fma_f64 v[94:95], v[163:164], s[16:17], v[129:130]
	v_add_f64 v[108:109], v[96:97], v[90:91]
	v_fma_f64 v[96:97], v[161:162], s[26:27], v[131:132]
	v_fma_f64 v[90:91], v[161:162], s[26:27], -v[131:132]
	v_fma_f64 v[131:132], v[167:168], s[16:17], -v[143:144]
	v_add_f64 v[98:99], v[145:146], v[98:99]
	v_add_f64 v[88:89], v[147:148], v[88:89]
	v_fma_f64 v[145:146], v[161:162], s[8:9], -v[137:138]
	v_fma_f64 v[147:148], v[161:162], s[2:3], -v[155:156]
	v_fma_f64 v[163:164], v[169:170], s[8:9], v[159:160]
	v_fma_f64 v[143:144], v[161:162], s[16:17], -v[139:140]
	v_fma_f64 v[167:168], v[169:170], s[16:17], v[165:166]
	v_add_f64 v[129:130], v[110:111], v[106:107]
	v_fma_f64 v[110:111], v[161:162], s[22:23], -v[153:154]
	v_fma_f64 v[106:107], v[169:170], s[26:27], -v[133:134]
	v_fma_f64 v[133:134], v[169:170], s[26:27], v[133:134]
	v_add_f64 v[157:158], v[157:158], v[86:87]
	v_fma_f64 v[153:154], v[161:162], s[22:23], v[153:154]
	v_fma_f64 v[139:140], v[161:162], s[16:17], v[139:140]
	v_add_f64 v[84:85], v[151:152], v[84:85]
	v_fma_f64 v[151:152], v[169:170], s[2:3], v[135:136]
	v_fma_f64 v[165:166], v[169:170], s[16:17], -v[165:166]
	v_fma_f64 v[137:138], v[161:162], s[8:9], v[137:138]
	v_fma_f64 v[159:160], v[169:170], s[8:9], -v[159:160]
	v_add_f64 v[175:176], v[94:95], v[82:83]
	v_fma_f64 v[155:156], v[161:162], s[2:3], v[155:156]
	v_fma_f64 v[135:136], v[169:170], s[2:3], -v[135:136]
	v_add_f64 v[131:132], v[131:132], v[98:99]
	v_add_f64 v[94:95], v[6:7], v[2:3]
	;; [unrolled: 1-line block ×20, first 2 shown]
	ds_write_b128 v0, v[92:95]
	ds_write_b128 v0, v[88:91] offset:16
	ds_write_b128 v0, v[84:87] offset:32
	;; [unrolled: 1-line block ×16, first 2 shown]
.LBB0_17:
	s_or_b32 exec_lo, exec_lo, s1
	s_waitcnt lgkmcnt(0)
	s_barrier
	buffer_gl0_inv
	ds_read_b128 v[4:7], v194
	ds_read_b128 v[8:11], v194 offset:544
	ds_read_b128 v[20:23], v194 offset:2448
	;; [unrolled: 1-line block ×7, first 2 shown]
	s_and_saveexec_b32 s1, s0
	s_cbranch_execz .LBB0_19
; %bb.18:
	ds_read_b128 v[120:123], v194 offset:2176
	ds_read_b128 v[124:127], v194 offset:4624
.LBB0_19:
	s_or_b32 exec_lo, exec_lo, s1
	s_waitcnt lgkmcnt(5)
	v_mul_f64 v[84:85], v[42:43], v[22:23]
	v_mul_f64 v[42:43], v[42:43], v[20:21]
	s_waitcnt lgkmcnt(4)
	v_mul_f64 v[86:87], v[46:47], v[18:19]
	v_mul_f64 v[46:47], v[46:47], v[16:17]
	;; [unrolled: 3-line block ×4, first 2 shown]
	s_barrier
	buffer_gl0_inv
	v_fma_f64 v[20:21], v[40:41], v[20:21], v[84:85]
	v_fma_f64 v[22:23], v[40:41], v[22:23], -v[42:43]
	v_fma_f64 v[40:41], v[44:45], v[16:17], v[86:87]
	v_fma_f64 v[42:43], v[44:45], v[18:19], -v[46:47]
	v_fma_f64 v[44:45], v[32:33], v[80:81], v[88:89]
	v_fma_f64 v[32:33], v[32:33], v[82:83], -v[34:35]
	v_fma_f64 v[34:35], v[36:37], v[24:25], v[90:91]
	v_fma_f64 v[36:37], v[36:37], v[26:27], -v[38:39]
	v_add_f64 v[16:17], v[4:5], -v[20:21]
	v_add_f64 v[18:19], v[6:7], -v[22:23]
	;; [unrolled: 1-line block ×8, first 2 shown]
	v_fma_f64 v[4:5], v[4:5], 2.0, -v[16:17]
	v_fma_f64 v[6:7], v[6:7], 2.0, -v[18:19]
	;; [unrolled: 1-line block ×8, first 2 shown]
	ds_write_b128 v199, v[16:19] offset:272
	ds_write_b128 v199, v[4:7]
	ds_write_b128 v198, v[8:11]
	ds_write_b128 v198, v[20:23] offset:272
	ds_write_b128 v197, v[12:15]
	ds_write_b128 v197, v[24:27] offset:272
	;; [unrolled: 2-line block ×3, first 2 shown]
	s_and_saveexec_b32 s1, s0
	s_cbranch_execz .LBB0_21
; %bb.20:
	v_mul_f64 v[0:1], v[30:31], v[124:125]
	v_mul_f64 v[2:3], v[30:31], v[126:127]
	v_lshl_add_u32 v8, v195, 4, v242
	v_fma_f64 v[0:1], v[28:29], v[126:127], -v[0:1]
	v_fma_f64 v[4:5], v[28:29], v[124:125], v[2:3]
	v_add_f64 v[2:3], v[122:123], -v[0:1]
	v_add_f64 v[0:1], v[120:121], -v[4:5]
	v_fma_f64 v[6:7], v[122:123], 2.0, -v[2:3]
	v_fma_f64 v[4:5], v[120:121], 2.0, -v[0:1]
	ds_write_b128 v8, v[4:7] offset:4352
	ds_write_b128 v8, v[0:3] offset:4624
.LBB0_21:
	s_or_b32 exec_lo, exec_lo, s1
	s_waitcnt lgkmcnt(0)
	s_barrier
	buffer_gl0_inv
	ds_read_b128 v[0:3], v194 offset:544
	ds_read_b128 v[4:7], v194 offset:4352
	;; [unrolled: 1-line block ×8, first 2 shown]
	s_mov_b32 s2, 0x8c811c17
	s_mov_b32 s8, 0xa2cf5039
	;; [unrolled: 1-line block ×8, first 2 shown]
	s_waitcnt lgkmcnt(7)
	v_mul_f64 v[32:33], v[58:59], v[2:3]
	v_mul_f64 v[34:35], v[58:59], v[0:1]
	s_waitcnt lgkmcnt(6)
	v_mul_f64 v[36:37], v[66:67], v[6:7]
	v_mul_f64 v[38:39], v[66:67], v[4:5]
	;; [unrolled: 3-line block ×6, first 2 shown]
	v_fma_f64 v[32:33], v[56:57], v[0:1], v[32:33]
	v_fma_f64 v[34:35], v[56:57], v[2:3], -v[34:35]
	ds_read_b128 v[0:3], v194
	v_fma_f64 v[4:5], v[64:65], v[4:5], v[36:37]
	v_fma_f64 v[6:7], v[64:65], v[6:7], -v[38:39]
	v_fma_f64 v[8:9], v[60:61], v[8:9], v[40:41]
	v_fma_f64 v[10:11], v[60:61], v[10:11], -v[42:43]
	;; [unrolled: 2-line block ×5, first 2 shown]
	s_waitcnt lgkmcnt(2)
	v_mul_f64 v[36:37], v[54:55], v[26:27]
	v_mul_f64 v[38:39], v[54:55], v[24:25]
	s_waitcnt lgkmcnt(1)
	v_mul_f64 v[40:41], v[50:51], v[30:31]
	v_mul_f64 v[42:43], v[50:51], v[28:29]
	v_add_f64 v[44:45], v[32:33], -v[4:5]
	v_add_f64 v[46:47], v[34:35], -v[6:7]
	v_add_f64 v[4:5], v[32:33], v[4:5]
	v_add_f64 v[6:7], v[34:35], v[6:7]
	;; [unrolled: 1-line block ×4, first 2 shown]
	v_add_f64 v[50:51], v[8:9], -v[12:13]
	v_add_f64 v[54:55], v[10:11], -v[14:15]
	v_add_f64 v[56:57], v[16:17], v[20:21]
	v_add_f64 v[58:59], v[18:19], v[22:23]
	v_fma_f64 v[24:25], v[52:53], v[24:25], v[36:37]
	v_fma_f64 v[26:27], v[52:53], v[26:27], -v[38:39]
	v_fma_f64 v[28:29], v[48:49], v[28:29], v[40:41]
	v_fma_f64 v[30:31], v[48:49], v[30:31], -v[42:43]
	v_add_f64 v[16:17], v[16:17], -v[20:21]
	v_add_f64 v[18:19], v[18:19], -v[22:23]
	v_mul_f64 v[20:21], v[44:45], s[0:1]
	v_mul_f64 v[22:23], v[46:47], s[0:1]
	s_waitcnt lgkmcnt(0)
	v_fma_f64 v[36:37], v[4:5], s[8:9], v[0:1]
	v_fma_f64 v[38:39], v[6:7], s[8:9], v[2:3]
	s_mov_b32 s1, 0xbfe491b7
	v_fma_f64 v[40:41], v[32:33], s[8:9], v[0:1]
	v_fma_f64 v[42:43], v[34:35], s[8:9], v[2:3]
	v_mul_f64 v[48:49], v[50:51], s[2:3]
	v_mul_f64 v[52:53], v[54:55], s[2:3]
	v_fma_f64 v[60:61], v[56:57], s[8:9], v[0:1]
	v_fma_f64 v[62:63], v[58:59], s[8:9], v[2:3]
	v_mul_f64 v[64:65], v[54:55], s[0:1]
	v_mul_f64 v[66:67], v[50:51], s[0:1]
	v_add_f64 v[68:69], v[24:25], v[28:29]
	v_add_f64 v[70:71], v[26:27], v[30:31]
	v_add_f64 v[72:73], v[56:57], v[4:5]
	v_add_f64 v[74:75], v[58:59], v[6:7]
	v_add_f64 v[24:25], v[24:25], -v[28:29]
	v_add_f64 v[26:27], v[26:27], -v[30:31]
	s_mov_b32 s8, 0xe8584cab
	s_mov_b32 s9, 0x3febb67a
	v_fma_f64 v[20:21], v[16:17], s[2:3], v[20:21]
	v_fma_f64 v[22:23], v[18:19], s[2:3], v[22:23]
	v_fma_f64 v[28:29], v[56:57], s[10:11], v[36:37]
	v_fma_f64 v[30:31], v[58:59], s[10:11], v[38:39]
	v_fma_f64 v[36:37], v[4:5], s[10:11], v[40:41]
	v_fma_f64 v[38:39], v[6:7], s[10:11], v[42:43]
	v_fma_f64 v[40:41], v[16:17], s[0:1], -v[48:49]
	v_fma_f64 v[42:43], v[18:19], s[0:1], -v[52:53]
	v_fma_f64 v[48:49], v[32:33], s[10:11], v[60:61]
	v_fma_f64 v[52:53], v[34:35], s[10:11], v[62:63]
	;; [unrolled: 1-line block ×4, first 2 shown]
	v_add_f64 v[64:65], v[50:51], v[44:45]
	v_add_f64 v[66:67], v[54:55], v[46:47]
	;; [unrolled: 1-line block ×8, first 2 shown]
	s_mov_b32 s1, 0xbfebb67a
	s_mov_b32 s0, s8
	v_fma_f64 v[20:21], v[24:25], s[8:9], v[20:21]
	v_fma_f64 v[22:23], v[26:27], s[8:9], v[22:23]
	v_fma_f64 v[28:29], v[68:69], -0.5, v[28:29]
	v_fma_f64 v[30:31], v[70:71], -0.5, v[30:31]
	;; [unrolled: 1-line block ×4, first 2 shown]
	v_fma_f64 v[40:41], v[24:25], s[8:9], v[40:41]
	v_fma_f64 v[42:43], v[26:27], s[8:9], v[42:43]
	v_fma_f64 v[48:49], v[68:69], -0.5, v[48:49]
	v_fma_f64 v[52:53], v[70:71], -0.5, v[52:53]
	v_fma_f64 v[26:27], v[26:27], s[0:1], v[60:61]
	v_fma_f64 v[24:25], v[24:25], s[0:1], v[62:63]
	s_mov_b32 s2, 0x748a0bf8
	s_mov_b32 s10, 0x42522d1b
	;; [unrolled: 1-line block ×4, first 2 shown]
	v_add_f64 v[8:9], v[8:9], v[72:73]
	v_add_f64 v[10:11], v[10:11], v[74:75]
	v_add_f64 v[60:61], v[64:65], -v[16:17]
	v_add_f64 v[62:63], v[66:67], -v[18:19]
	v_fma_f64 v[64:65], v[80:81], -0.5, v[76:77]
	v_fma_f64 v[66:67], v[82:83], -0.5, v[78:79]
	v_fma_f64 v[50:51], v[50:51], s[2:3], v[20:21]
	v_fma_f64 v[54:55], v[54:55], s[2:3], v[22:23]
	;; [unrolled: 1-line block ×12, first 2 shown]
	v_add_f64 v[44:45], v[12:13], v[8:9]
	v_add_f64 v[46:47], v[14:15], v[10:11]
	v_mul_f64 v[24:25], v[60:61], s[8:9]
	v_mul_f64 v[26:27], v[62:63], s[8:9]
	v_fma_f64 v[4:5], v[62:63], s[0:1], v[64:65]
	v_fma_f64 v[6:7], v[60:61], s[8:9], v[66:67]
	v_add_f64 v[8:9], v[20:21], -v[54:55]
	v_add_f64 v[10:11], v[50:51], v[22:23]
	v_add_f64 v[12:13], v[36:37], -v[34:35]
	v_add_f64 v[14:15], v[32:33], v[38:39]
	v_add_f64 v[16:17], v[28:29], -v[40:41]
	v_add_f64 v[18:19], v[42:43], v[30:31]
	v_add_f64 v[0:1], v[0:1], v[44:45]
	v_add_f64 v[2:3], v[2:3], v[46:47]
	v_fma_f64 v[20:21], v[26:27], 2.0, v[4:5]
	v_fma_f64 v[22:23], v[24:25], -2.0, v[6:7]
	v_fma_f64 v[24:25], v[54:55], 2.0, v[8:9]
	v_fma_f64 v[26:27], v[50:51], -2.0, v[10:11]
	;; [unrolled: 2-line block ×4, first 2 shown]
	ds_write_b128 v193, v[4:7] offset:1632
	ds_write_b128 v193, v[0:3]
	ds_write_b128 v193, v[8:11] offset:544
	ds_write_b128 v193, v[12:15] offset:2176
	;; [unrolled: 1-line block ×7, first 2 shown]
	s_waitcnt lgkmcnt(0)
	s_barrier
	buffer_gl0_inv
	s_and_b32 exec_lo, exec_lo, vcc_lo
	s_cbranch_execz .LBB0_23
; %bb.22:
	global_load_dwordx4 v[0:3], v235, s[12:13]
	ds_read_b128 v[4:7], v193
	ds_read_b128 v[8:11], v193 offset:288
	v_mad_u64_u32 v[14:15], null, s6, v128, 0
	s_mov_b32 s0, 0x1ac5701b
	s_mov_b32 s1, 0x3f6ac570
	s_mul_i32 s2, s5, 0x120
	s_mul_hi_u32 s6, s4, 0x120
	s_mul_i32 s3, s4, 0x120
	s_add_i32 s2, s6, s2
	v_add_co_u32 v20, s6, s12, v235
	v_add_co_ci_u32_e64 v21, null, s13, 0, s6
	s_waitcnt vmcnt(0) lgkmcnt(1)
	v_mul_f64 v[12:13], v[6:7], v[2:3]
	v_mul_f64 v[2:3], v[4:5], v[2:3]
	v_fma_f64 v[4:5], v[4:5], v[0:1], v[12:13]
	v_fma_f64 v[0:1], v[0:1], v[6:7], -v[2:3]
	v_mad_u64_u32 v[6:7], null, s4, v255, 0
	v_mov_b32_e32 v2, v15
	v_mov_b32_e32 v3, v7
	v_mad_u64_u32 v[12:13], null, s7, v128, v[2:3]
	v_mad_u64_u32 v[16:17], null, s5, v255, v[3:4]
	v_mov_b32_e32 v15, v12
	v_mul_f64 v[2:3], v[4:5], s[0:1]
	v_mul_f64 v[4:5], v[0:1], s[0:1]
	v_lshlrev_b64 v[0:1], 4, v[14:15]
	v_mov_b32_e32 v7, v16
	v_add_co_u32 v0, vcc_lo, s14, v0
	v_lshlrev_b64 v[6:7], 4, v[6:7]
	v_add_co_ci_u32_e32 v1, vcc_lo, s15, v1, vcc_lo
	v_add_co_u32 v6, vcc_lo, v0, v6
	v_add_co_ci_u32_e32 v7, vcc_lo, v1, v7, vcc_lo
	v_add_co_u32 v14, vcc_lo, v6, s3
	global_store_dwordx4 v[6:7], v[2:5], off
	global_load_dwordx4 v[2:5], v235, s[12:13] offset:288
	v_add_co_ci_u32_e32 v15, vcc_lo, s2, v7, vcc_lo
	s_waitcnt vmcnt(0) lgkmcnt(0)
	v_mul_f64 v[12:13], v[10:11], v[4:5]
	v_mul_f64 v[4:5], v[8:9], v[4:5]
	v_fma_f64 v[8:9], v[8:9], v[2:3], v[12:13]
	v_fma_f64 v[4:5], v[2:3], v[10:11], -v[4:5]
	v_mul_f64 v[2:3], v[8:9], s[0:1]
	v_mul_f64 v[4:5], v[4:5], s[0:1]
	global_store_dwordx4 v[14:15], v[2:5], off
	global_load_dwordx4 v[2:5], v235, s[12:13] offset:576
	ds_read_b128 v[6:9], v193 offset:576
	ds_read_b128 v[10:13], v193 offset:864
	s_waitcnt vmcnt(0) lgkmcnt(1)
	v_mul_f64 v[16:17], v[8:9], v[4:5]
	v_mul_f64 v[4:5], v[6:7], v[4:5]
	v_fma_f64 v[6:7], v[6:7], v[2:3], v[16:17]
	v_fma_f64 v[4:5], v[2:3], v[8:9], -v[4:5]
	v_mul_f64 v[2:3], v[6:7], s[0:1]
	v_mul_f64 v[4:5], v[4:5], s[0:1]
	v_add_co_u32 v6, vcc_lo, v14, s3
	v_add_co_ci_u32_e32 v7, vcc_lo, s2, v15, vcc_lo
	v_add_co_u32 v14, vcc_lo, v6, s3
	v_add_co_ci_u32_e32 v15, vcc_lo, s2, v7, vcc_lo
	global_store_dwordx4 v[6:7], v[2:5], off
	global_load_dwordx4 v[2:5], v235, s[12:13] offset:864
	s_waitcnt vmcnt(0) lgkmcnt(0)
	v_mul_f64 v[8:9], v[12:13], v[4:5]
	v_mul_f64 v[4:5], v[10:11], v[4:5]
	v_fma_f64 v[8:9], v[10:11], v[2:3], v[8:9]
	v_fma_f64 v[4:5], v[2:3], v[12:13], -v[4:5]
	v_mul_f64 v[2:3], v[8:9], s[0:1]
	v_mul_f64 v[4:5], v[4:5], s[0:1]
	global_store_dwordx4 v[14:15], v[2:5], off
	global_load_dwordx4 v[2:5], v235, s[12:13] offset:1152
	ds_read_b128 v[6:9], v193 offset:1152
	ds_read_b128 v[10:13], v193 offset:1440
	s_waitcnt vmcnt(0) lgkmcnt(1)
	v_mul_f64 v[16:17], v[8:9], v[4:5]
	v_mul_f64 v[4:5], v[6:7], v[4:5]
	v_fma_f64 v[6:7], v[6:7], v[2:3], v[16:17]
	v_fma_f64 v[4:5], v[2:3], v[8:9], -v[4:5]
	v_mul_f64 v[2:3], v[6:7], s[0:1]
	v_mul_f64 v[4:5], v[4:5], s[0:1]
	v_add_co_u32 v6, vcc_lo, v14, s3
	v_add_co_ci_u32_e32 v7, vcc_lo, s2, v15, vcc_lo
	v_add_co_u32 v14, vcc_lo, v6, s3
	v_add_co_ci_u32_e32 v15, vcc_lo, s2, v7, vcc_lo
	global_store_dwordx4 v[6:7], v[2:5], off
	global_load_dwordx4 v[2:5], v235, s[12:13] offset:1440
	s_waitcnt vmcnt(0) lgkmcnt(0)
	v_mul_f64 v[8:9], v[12:13], v[4:5]
	v_mul_f64 v[4:5], v[10:11], v[4:5]
	v_fma_f64 v[8:9], v[10:11], v[2:3], v[8:9]
	v_fma_f64 v[4:5], v[2:3], v[12:13], -v[4:5]
	v_mul_f64 v[2:3], v[8:9], s[0:1]
	v_mul_f64 v[4:5], v[4:5], s[0:1]
	global_store_dwordx4 v[14:15], v[2:5], off
	global_load_dwordx4 v[2:5], v235, s[12:13] offset:1728
	ds_read_b128 v[6:9], v193 offset:1728
	ds_read_b128 v[10:13], v193 offset:2016
	s_waitcnt vmcnt(0) lgkmcnt(1)
	v_mul_f64 v[16:17], v[8:9], v[4:5]
	v_mul_f64 v[4:5], v[6:7], v[4:5]
	v_fma_f64 v[6:7], v[6:7], v[2:3], v[16:17]
	v_fma_f64 v[4:5], v[2:3], v[8:9], -v[4:5]
	v_mul_f64 v[2:3], v[6:7], s[0:1]
	v_mul_f64 v[4:5], v[4:5], s[0:1]
	v_add_co_u32 v6, vcc_lo, v14, s3
	v_add_co_ci_u32_e32 v7, vcc_lo, s2, v15, vcc_lo
	v_add_co_u32 v14, vcc_lo, v6, s3
	v_add_co_ci_u32_e32 v15, vcc_lo, s2, v7, vcc_lo
	;; [unrolled: 2-line block ×3, first 2 shown]
	global_store_dwordx4 v[6:7], v[2:5], off
	global_load_dwordx4 v[2:5], v235, s[12:13] offset:2016
	s_waitcnt vmcnt(0) lgkmcnt(0)
	v_mul_f64 v[8:9], v[12:13], v[4:5]
	v_mul_f64 v[4:5], v[10:11], v[4:5]
	v_fma_f64 v[8:9], v[10:11], v[2:3], v[8:9]
	v_fma_f64 v[4:5], v[2:3], v[12:13], -v[4:5]
	v_mul_f64 v[2:3], v[8:9], s[0:1]
	v_mul_f64 v[4:5], v[4:5], s[0:1]
	global_store_dwordx4 v[14:15], v[2:5], off
	global_load_dwordx4 v[2:5], v[16:17], off offset:256
	ds_read_b128 v[6:9], v193 offset:2304
	ds_read_b128 v[10:13], v193 offset:2592
	s_waitcnt vmcnt(0) lgkmcnt(1)
	v_mul_f64 v[18:19], v[8:9], v[4:5]
	v_mul_f64 v[4:5], v[6:7], v[4:5]
	v_fma_f64 v[6:7], v[6:7], v[2:3], v[18:19]
	v_fma_f64 v[4:5], v[2:3], v[8:9], -v[4:5]
	v_mul_f64 v[2:3], v[6:7], s[0:1]
	v_mul_f64 v[4:5], v[4:5], s[0:1]
	v_add_co_u32 v6, vcc_lo, v14, s3
	v_add_co_ci_u32_e32 v7, vcc_lo, s2, v15, vcc_lo
	v_add_co_u32 v14, vcc_lo, v6, s3
	v_add_co_ci_u32_e32 v15, vcc_lo, s2, v7, vcc_lo
	global_store_dwordx4 v[6:7], v[2:5], off
	global_load_dwordx4 v[2:5], v[16:17], off offset:544
	s_waitcnt vmcnt(0) lgkmcnt(0)
	v_mul_f64 v[8:9], v[12:13], v[4:5]
	v_mul_f64 v[4:5], v[10:11], v[4:5]
	v_fma_f64 v[8:9], v[10:11], v[2:3], v[8:9]
	v_fma_f64 v[4:5], v[2:3], v[12:13], -v[4:5]
	v_mul_f64 v[2:3], v[8:9], s[0:1]
	v_mul_f64 v[4:5], v[4:5], s[0:1]
	global_store_dwordx4 v[14:15], v[2:5], off
	global_load_dwordx4 v[2:5], v[16:17], off offset:832
	ds_read_b128 v[6:9], v193 offset:2880
	ds_read_b128 v[10:13], v193 offset:3168
	s_waitcnt vmcnt(0) lgkmcnt(1)
	v_mul_f64 v[18:19], v[8:9], v[4:5]
	v_mul_f64 v[4:5], v[6:7], v[4:5]
	v_fma_f64 v[6:7], v[6:7], v[2:3], v[18:19]
	v_fma_f64 v[4:5], v[2:3], v[8:9], -v[4:5]
	v_mul_f64 v[2:3], v[6:7], s[0:1]
	v_mul_f64 v[4:5], v[4:5], s[0:1]
	v_add_co_u32 v6, vcc_lo, v14, s3
	v_add_co_ci_u32_e32 v7, vcc_lo, s2, v15, vcc_lo
	v_add_co_u32 v14, vcc_lo, v6, s3
	v_add_co_ci_u32_e32 v15, vcc_lo, s2, v7, vcc_lo
	global_store_dwordx4 v[6:7], v[2:5], off
	global_load_dwordx4 v[2:5], v[16:17], off offset:1120
	s_waitcnt vmcnt(0) lgkmcnt(0)
	v_mul_f64 v[8:9], v[12:13], v[4:5]
	v_mul_f64 v[4:5], v[10:11], v[4:5]
	v_fma_f64 v[8:9], v[10:11], v[2:3], v[8:9]
	v_fma_f64 v[4:5], v[2:3], v[12:13], -v[4:5]
	v_mul_f64 v[2:3], v[8:9], s[0:1]
	v_mul_f64 v[4:5], v[4:5], s[0:1]
	global_store_dwordx4 v[14:15], v[2:5], off
	global_load_dwordx4 v[2:5], v[16:17], off offset:1408
	ds_read_b128 v[6:9], v193 offset:3456
	ds_read_b128 v[10:13], v193 offset:3744
	s_waitcnt vmcnt(0) lgkmcnt(1)
	v_mul_f64 v[18:19], v[8:9], v[4:5]
	v_mul_f64 v[4:5], v[6:7], v[4:5]
	v_fma_f64 v[6:7], v[6:7], v[2:3], v[18:19]
	v_fma_f64 v[4:5], v[2:3], v[8:9], -v[4:5]
	v_mul_f64 v[2:3], v[6:7], s[0:1]
	v_mul_f64 v[4:5], v[4:5], s[0:1]
	v_add_co_u32 v6, vcc_lo, v14, s3
	v_add_co_ci_u32_e32 v7, vcc_lo, s2, v15, vcc_lo
	v_add_co_u32 v14, vcc_lo, v6, s3
	v_add_co_ci_u32_e32 v15, vcc_lo, s2, v7, vcc_lo
	global_store_dwordx4 v[6:7], v[2:5], off
	global_load_dwordx4 v[2:5], v[16:17], off offset:1696
	s_waitcnt vmcnt(0) lgkmcnt(0)
	v_mul_f64 v[8:9], v[12:13], v[4:5]
	v_mul_f64 v[4:5], v[10:11], v[4:5]
	v_fma_f64 v[8:9], v[10:11], v[2:3], v[8:9]
	v_fma_f64 v[4:5], v[2:3], v[12:13], -v[4:5]
	v_mul_f64 v[2:3], v[8:9], s[0:1]
	v_mul_f64 v[4:5], v[4:5], s[0:1]
	global_store_dwordx4 v[14:15], v[2:5], off
	global_load_dwordx4 v[2:5], v[16:17], off offset:1984
	ds_read_b128 v[6:9], v193 offset:4032
	ds_read_b128 v[10:13], v193 offset:4320
	s_waitcnt vmcnt(0) lgkmcnt(1)
	v_mul_f64 v[16:17], v[8:9], v[4:5]
	v_mul_f64 v[4:5], v[6:7], v[4:5]
	v_fma_f64 v[6:7], v[6:7], v[2:3], v[16:17]
	v_fma_f64 v[4:5], v[2:3], v[8:9], -v[4:5]
	v_mul_f64 v[2:3], v[6:7], s[0:1]
	v_mul_f64 v[4:5], v[4:5], s[0:1]
	v_add_co_u32 v6, vcc_lo, v14, s3
	v_add_co_ci_u32_e32 v7, vcc_lo, s2, v15, vcc_lo
	v_add_co_u32 v8, vcc_lo, 0x1000, v20
	v_add_co_ci_u32_e32 v9, vcc_lo, 0, v21, vcc_lo
	global_store_dwordx4 v[6:7], v[2:5], off
	global_load_dwordx4 v[2:5], v[8:9], off offset:224
	v_add_co_u32 v6, vcc_lo, v6, s3
	v_add_co_ci_u32_e32 v7, vcc_lo, s2, v7, vcc_lo
	s_waitcnt vmcnt(0) lgkmcnt(0)
	v_mul_f64 v[8:9], v[12:13], v[4:5]
	v_mul_f64 v[4:5], v[10:11], v[4:5]
	v_fma_f64 v[8:9], v[10:11], v[2:3], v[8:9]
	v_fma_f64 v[4:5], v[2:3], v[12:13], -v[4:5]
	v_mul_f64 v[2:3], v[8:9], s[0:1]
	v_mul_f64 v[4:5], v[4:5], s[0:1]
	v_lshlrev_b32_e32 v8, 4, v241
	global_store_dwordx4 v[6:7], v[2:5], off
	global_load_dwordx4 v[2:5], v8, s[12:13]
	ds_read_b128 v[6:9], v193 offset:4608
	s_waitcnt vmcnt(0) lgkmcnt(0)
	v_mul_f64 v[10:11], v[8:9], v[4:5]
	v_mul_f64 v[4:5], v[6:7], v[4:5]
	v_fma_f64 v[6:7], v[6:7], v[2:3], v[10:11]
	v_fma_f64 v[4:5], v[2:3], v[8:9], -v[4:5]
	v_mad_u64_u32 v[8:9], null, s4, v241, 0
	v_mov_b32_e32 v2, v9
	v_mad_u64_u32 v[9:10], null, s5, v241, v[2:3]
	v_mul_f64 v[2:3], v[6:7], s[0:1]
	v_mul_f64 v[4:5], v[4:5], s[0:1]
	v_lshlrev_b64 v[6:7], 4, v[8:9]
	v_add_co_u32 v0, vcc_lo, v0, v6
	v_add_co_ci_u32_e32 v1, vcc_lo, v1, v7, vcc_lo
	global_store_dwordx4 v[0:1], v[2:5], off
.LBB0_23:
	s_endpgm
	.section	.rodata,"a",@progbits
	.p2align	6, 0x0
	.amdhsa_kernel bluestein_single_back_len306_dim1_dp_op_CI_CI
		.amdhsa_group_segment_fixed_size 34272
		.amdhsa_private_segment_fixed_size 540
		.amdhsa_kernarg_size 104
		.amdhsa_user_sgpr_count 6
		.amdhsa_user_sgpr_private_segment_buffer 1
		.amdhsa_user_sgpr_dispatch_ptr 0
		.amdhsa_user_sgpr_queue_ptr 0
		.amdhsa_user_sgpr_kernarg_segment_ptr 1
		.amdhsa_user_sgpr_dispatch_id 0
		.amdhsa_user_sgpr_flat_scratch_init 0
		.amdhsa_user_sgpr_private_segment_size 0
		.amdhsa_wavefront_size32 1
		.amdhsa_uses_dynamic_stack 0
		.amdhsa_system_sgpr_private_segment_wavefront_offset 1
		.amdhsa_system_sgpr_workgroup_id_x 1
		.amdhsa_system_sgpr_workgroup_id_y 0
		.amdhsa_system_sgpr_workgroup_id_z 0
		.amdhsa_system_sgpr_workgroup_info 0
		.amdhsa_system_vgpr_workitem_id 0
		.amdhsa_next_free_vgpr 256
		.amdhsa_next_free_sgpr 64
		.amdhsa_reserve_vcc 1
		.amdhsa_reserve_flat_scratch 0
		.amdhsa_float_round_mode_32 0
		.amdhsa_float_round_mode_16_64 0
		.amdhsa_float_denorm_mode_32 3
		.amdhsa_float_denorm_mode_16_64 3
		.amdhsa_dx10_clamp 1
		.amdhsa_ieee_mode 1
		.amdhsa_fp16_overflow 0
		.amdhsa_workgroup_processor_mode 1
		.amdhsa_memory_ordered 1
		.amdhsa_forward_progress 0
		.amdhsa_shared_vgpr_count 0
		.amdhsa_exception_fp_ieee_invalid_op 0
		.amdhsa_exception_fp_denorm_src 0
		.amdhsa_exception_fp_ieee_div_zero 0
		.amdhsa_exception_fp_ieee_overflow 0
		.amdhsa_exception_fp_ieee_underflow 0
		.amdhsa_exception_fp_ieee_inexact 0
		.amdhsa_exception_int_div_zero 0
	.end_amdhsa_kernel
	.text
.Lfunc_end0:
	.size	bluestein_single_back_len306_dim1_dp_op_CI_CI, .Lfunc_end0-bluestein_single_back_len306_dim1_dp_op_CI_CI
                                        ; -- End function
	.section	.AMDGPU.csdata,"",@progbits
; Kernel info:
; codeLenInByte = 25980
; NumSgprs: 66
; NumVgprs: 256
; ScratchSize: 540
; MemoryBound: 0
; FloatMode: 240
; IeeeMode: 1
; LDSByteSize: 34272 bytes/workgroup (compile time only)
; SGPRBlocks: 8
; VGPRBlocks: 31
; NumSGPRsForWavesPerEU: 66
; NumVGPRsForWavesPerEU: 256
; Occupancy: 4
; WaveLimiterHint : 1
; COMPUTE_PGM_RSRC2:SCRATCH_EN: 1
; COMPUTE_PGM_RSRC2:USER_SGPR: 6
; COMPUTE_PGM_RSRC2:TRAP_HANDLER: 0
; COMPUTE_PGM_RSRC2:TGID_X_EN: 1
; COMPUTE_PGM_RSRC2:TGID_Y_EN: 0
; COMPUTE_PGM_RSRC2:TGID_Z_EN: 0
; COMPUTE_PGM_RSRC2:TIDIG_COMP_CNT: 0
	.text
	.p2alignl 6, 3214868480
	.fill 48, 4, 3214868480
	.type	__hip_cuid_6702d6e9aabef4bc,@object ; @__hip_cuid_6702d6e9aabef4bc
	.section	.bss,"aw",@nobits
	.globl	__hip_cuid_6702d6e9aabef4bc
__hip_cuid_6702d6e9aabef4bc:
	.byte	0                               ; 0x0
	.size	__hip_cuid_6702d6e9aabef4bc, 1

	.ident	"AMD clang version 19.0.0git (https://github.com/RadeonOpenCompute/llvm-project roc-6.4.0 25133 c7fe45cf4b819c5991fe208aaa96edf142730f1d)"
	.section	".note.GNU-stack","",@progbits
	.addrsig
	.addrsig_sym __hip_cuid_6702d6e9aabef4bc
	.amdgpu_metadata
---
amdhsa.kernels:
  - .args:
      - .actual_access:  read_only
        .address_space:  global
        .offset:         0
        .size:           8
        .value_kind:     global_buffer
      - .actual_access:  read_only
        .address_space:  global
        .offset:         8
        .size:           8
        .value_kind:     global_buffer
      - .actual_access:  read_only
        .address_space:  global
        .offset:         16
        .size:           8
        .value_kind:     global_buffer
      - .actual_access:  read_only
        .address_space:  global
        .offset:         24
        .size:           8
        .value_kind:     global_buffer
      - .actual_access:  read_only
        .address_space:  global
        .offset:         32
        .size:           8
        .value_kind:     global_buffer
      - .offset:         40
        .size:           8
        .value_kind:     by_value
      - .address_space:  global
        .offset:         48
        .size:           8
        .value_kind:     global_buffer
      - .address_space:  global
        .offset:         56
        .size:           8
        .value_kind:     global_buffer
      - .address_space:  global
        .offset:         64
        .size:           8
        .value_kind:     global_buffer
      - .address_space:  global
        .offset:         72
        .size:           8
        .value_kind:     global_buffer
      - .offset:         80
        .size:           4
        .value_kind:     by_value
      - .address_space:  global
        .offset:         88
        .size:           8
        .value_kind:     global_buffer
      - .address_space:  global
        .offset:         96
        .size:           8
        .value_kind:     global_buffer
    .group_segment_fixed_size: 34272
    .kernarg_segment_align: 8
    .kernarg_segment_size: 104
    .language:       OpenCL C
    .language_version:
      - 2
      - 0
    .max_flat_workgroup_size: 238
    .name:           bluestein_single_back_len306_dim1_dp_op_CI_CI
    .private_segment_fixed_size: 540
    .sgpr_count:     66
    .sgpr_spill_count: 0
    .symbol:         bluestein_single_back_len306_dim1_dp_op_CI_CI.kd
    .uniform_work_group_size: 1
    .uses_dynamic_stack: false
    .vgpr_count:     256
    .vgpr_spill_count: 156
    .wavefront_size: 32
    .workgroup_processor_mode: 1
amdhsa.target:   amdgcn-amd-amdhsa--gfx1030
amdhsa.version:
  - 1
  - 2
...

	.end_amdgpu_metadata
